;; amdgpu-corpus repo=ROCm/aiter kind=harvested arch=n/a opt=n/a

/root/src/amdgpu-assembly/repos/ROCm__aiter/hsa/gfx942/bf16gemm/bf16gemm_fp32bf16_tn_48x64_bshuffle_splitk_clean.co:	file format elf64-amdgpu

Disassembly of section .text:

0000000000002a00 <_ZN5aiter48bf16gemm_fp32bf16_tn_48x64_bshuffle_splitk_cleanE>:
	s_mov_b32 s53, s4                                          // 000000002A00: BEB50004
	s_and_b32 s1, s1, 0xffff                                   // 000000002A04: 8601FF01 0000FFFF
	s_load_dword s25, s[0:1], 0xe0                             // 000000002A0C: C0020640 000000E0
	s_load_dword s26, s[0:1], 0xf0                             // 000000002A14: C0020680 000000F0
	s_load_dword s27, s[0:1], 0x100                            // 000000002A1C: C00206C0 00000100
	s_load_dword s28, s[0:1], 0xa0                             // 000000002A24: C0020700 000000A0
	s_load_dword s29, s[0:1], 0xc0                             // 000000002A2C: C0020740 000000C0
	s_load_dword s30, s[0:1], 0x80                             // 000000002A34: C0020780 00000080
	s_load_dword s20, s[0:1], 0x40                             // 000000002A3C: C0020500 00000040
	s_load_dword s21, s[0:1], 0x50                             // 000000002A44: C0020540 00000050
	s_load_dwordx2 s[4:5], s[0:1], 0x20                        // 000000002A4C: C0060100 00000020
	s_load_dwordx2 s[8:9], s[0:1], 0x30                        // 000000002A54: C0060200 00000030
	s_load_dwordx2 s[12:13], s[0:1], 0x10                      // 000000002A5C: C0060300 00000010
	s_load_dwordx2 s[16:17], s[0:1], 0x0                       // 000000002A64: C0060400 00000000
	s_load_dword s52, s[0:1], 0x110                            // 000000002A6C: C0020D00 00000110
	s_load_dword s54, s[0:1], 0x120                            // 000000002A74: C0020D80 00000120
	s_load_dwordx2 s[36:37], s[0:1], 0x130                     // 000000002A7C: C0060900 00000130
	s_load_dword s61, s[0:1], 0x140                            // 000000002A84: C0020F40 00000140
	s_load_dwordx2 s[40:41], s[0:1], 0x150                     // 000000002A8C: C0060A00 00000150
	v_lshrrev_b32_e32 v1, 10, v0                               // 000000002A94: 2002008A
	v_lshrrev_b32_e32 v2, 10, v1                               // 000000002A98: 2004028A
	v_and_b32_e32 v2, 0x3ff, v2                                // 000000002A9C: 260404FF 000003FF
	v_and_b32_e32 v1, 0x3ff, v1                                // 000000002AA4: 260202FF 000003FF
	v_and_b32_e32 v0, 0x3ff, v0                                // 000000002AAC: 260000FF 000003FF
	v_lshrrev_b32_e32 v3, 6, v0                                // 000000002AB4: 20060086
	v_and_b32_e32 v0, 63, v0                                   // 000000002AB8: 260000BF
	s_mov_b32 s22, s2                                          // 000000002ABC: BE960002
	s_mov_b32 s23, s3                                          // 000000002AC0: BE970003
	v_readfirstlane_b32 s24, v3                                // 000000002AC4: 7E300503
	s_waitcnt lgkmcnt(0)                                       // 000000002AC8: BF8CC07F
	s_mov_b32 s18, -16                                         // 000000002ACC: BE9200D0
	s_mov_b32 s14, -16                                         // 000000002AD0: BE8E00D0
	s_mov_b32 s10, -16                                         // 000000002AD4: BE8A00D0
	s_mov_b32 s6, -16                                          // 000000002AD8: BE8600D0
	s_mov_b32 s38, -16                                         // 000000002ADC: BEA600D0
	s_mov_b32 s19, 0x20000                                     // 000000002AE0: BE9300FF 00020000
	s_mov_b32 s15, 0x20000                                     // 000000002AE8: BE8F00FF 00020000
	s_mov_b32 s11, 0x20000                                     // 000000002AF0: BE8B00FF 00020000
	s_mov_b32 s7, 0x20000                                      // 000000002AF8: BE8700FF 00020000
	s_mov_b32 s39, 0x20000                                     // 000000002B00: BEA700FF 00020000
	s_and_b32 s17, s17, 0xffff                                 // 000000002B08: 8611FF11 0000FFFF
	s_and_b32 s13, s13, 0xffff                                 // 000000002B10: 860DFF0D 0000FFFF
	s_and_b32 s9, s9, 0xffff                                   // 000000002B18: 8609FF09 0000FFFF
	s_and_b32 s5, s5, 0xffff                                   // 000000002B20: 8605FF05 0000FFFF
	s_and_b32 s37, s37, 0xffff                                 // 000000002B28: 8625FF25 0000FFFF
	s_or_b32 s17, s17, 0x40000                                 // 000000002B30: 8711FF11 00040000
	s_or_b32 s13, s13, 0x40000                                 // 000000002B38: 870DFF0D 00040000
	s_or_b32 s9, s9, 0x40000                                   // 000000002B40: 8709FF09 00040000
	s_or_b32 s5, s5, 0x40000                                   // 000000002B48: 8705FF05 00040000
	s_or_b32 s37, s37, 0x40000                                 // 000000002B50: 8725FF25 00040000
	s_add_u32 s31, s26, 63                                     // 000000002B58: 801FBF1A
	s_lshr_b32 s31, s31, 6                                     // 000000002B5C: 8F1F861F
	s_mul_i32 s62, s23, s31                                    // 000000002B60: 923E1F17
	s_add_u32 s62, s62, s22                                    // 000000002B64: 803E163E
	s_lshl_b32 s62, s62, 2                                     // 000000002B68: 8E3E823E
	s_cmp_eq_u32 s53, 0                                        // 000000002B6C: BF068035
	s_cbranch_scc0 label_005F                                  // 000000002B70: BF840002
	s_load_dword s63, s[40:41], s62 glc                        // 000000002B74: C0010FD4 0000003E

0000000000002b7c <label_005F>:
	s_mov_b32 s35, 0x7060302                                   // 000000002B7C: BEA300FF 07060302
	v_mov_b32_e32 v9, 0xffff0000                               // 000000002B84: 7E1202FF FFFF0000
	v_mov_b32_e32 v10, 0x7fff0000                              // 000000002B8C: 7E1402FF 7FFF0000
	v_mov_b32_e32 v11, 0x7fff                                  // 000000002B94: 7E1602FF 00007FFF
	s_mul_i32 s31, s30, s25                                    // 000000002B9C: 921F191E
	s_mov_b32 s18, s31                                         // 000000002BA0: BE92001F
	s_cmp_lt_u32 s54, 1                                        // 000000002BA4: BF0A8136
	s_cbranch_scc0 label_0086                                  // 000000002BA8: BF84001B
	v_and_b32_e64 v12, v0, 15                                  // 000000002BAC: D113000C 00011F00
	v_mul_lo_u32 v12, v12, s30                                 // 000000002BB4: D285000C 00003D0C
	v_lshrrev_b32_e32 v4, 4, v0                                // 000000002BBC: 20080084
	v_mul_i32_i24_e32 v4, 16, v4                               // 000000002BC0: 0C080890
	v_add_u32_e32 v12, v4, v12                                 // 000000002BC4: 68181904
	s_mul_i32 s31, s23, 48                                     // 000000002BC8: 921FB017
	s_mul_i32 s31, s31, s30                                    // 000000002BCC: 921F1E1F
	v_add_u32_e32 v12, s31, v12                                // 000000002BD0: 6818181F
	s_mul_i32 s31, s22, 64                                     // 000000002BD4: 921FC016
	s_mul_i32 s31, s31, 4                                      // 000000002BD8: 921F841F
	v_add_u32_e32 v12, s31, v12                                // 000000002BDC: 6818181F
	s_mul_i32 s31, 64, s24                                     // 000000002BE0: 921F18C0
	v_add_u32_e32 v12, s31, v12                                // 000000002BE4: 6818181F
	s_mul_i32 s31, 16, s30                                     // 000000002BE8: 921F1E90
	v_add_u32_e32 v13, s31, v12                                // 000000002BEC: 681A181F
	v_add_u32_e32 v14, s31, v13                                // 000000002BF0: 681C1A1F
	s_mul_i32 s31, s23, 48                                     // 000000002BF4: 921FB017
	s_add_i32 s31, s31, s24                                    // 000000002BF8: 811F181F
	s_mul_i32 s31, s31, s30                                    // 000000002BFC: 921F1E1F
	s_mul_i32 s32, s22, 64                                     // 000000002C00: 9220C016
	s_mul_i32 s32, s32, 4                                      // 000000002C04: 92208420
	s_add_i32 s31, s31, s32                                    // 000000002C08: 811F201F
	v_lshlrev_b32_e32 v15, 2, v0                               // 000000002C0C: 241E0082
	v_add_u32_e32 v15, s31, v15                                // 000000002C10: 681E1E1F
	s_branch label_00A6                                        // 000000002C14: BF820020

0000000000002c18 <label_0086>:
	v_and_b32_e64 v12, v0, 15                                  // 000000002C18: D113000C 00011F00
	v_mul_lo_u32 v12, v12, s30                                 // 000000002C20: D285000C 00003D0C
	v_lshrrev_b32_e32 v4, 4, v0                                // 000000002C28: 20080084
	v_mul_i32_i24_e32 v4, 8, v4                                // 000000002C2C: 0C080888
	v_add_u32_e32 v12, v4, v12                                 // 000000002C30: 68181904
	s_mul_i32 s31, s23, 48                                     // 000000002C34: 921FB017
	s_mul_i32 s31, s31, s30                                    // 000000002C38: 921F1E1F
	v_add_u32_e32 v12, s31, v12                                // 000000002C3C: 6818181F
	s_mul_i32 s31, s22, 64                                     // 000000002C40: 921FC016
	s_mul_i32 s31, s31, 2                                      // 000000002C44: 921F821F
	v_add_u32_e32 v12, s31, v12                                // 000000002C48: 6818181F
	s_mul_i32 s31, 32, s24                                     // 000000002C4C: 921F18A0
	v_add_u32_e32 v12, s31, v12                                // 000000002C50: 6818181F
	s_mul_i32 s31, 16, s30                                     // 000000002C54: 921F1E90
	v_add_u32_e32 v13, s31, v12                                // 000000002C58: 681A181F
	v_add_u32_e32 v14, s31, v13                                // 000000002C5C: 681C1A1F
	s_mul_i32 s31, s23, 48                                     // 000000002C60: 921FB017
	s_add_i32 s31, s31, s24                                    // 000000002C64: 811F181F
	s_mul_i32 s31, s31, s30                                    // 000000002C68: 921F1E1F
	s_mul_i32 s32, s22, 64                                     // 000000002C6C: 9220C016
	s_mul_i32 s32, s32, 2                                      // 000000002C70: 92208220
	s_add_i32 s31, s31, s32                                    // 000000002C74: 811F201F
	v_lshrrev_b32_e32 v4, 5, v0                                // 000000002C78: 20080085
	s_mul_i32 s32, s30, 4                                      // 000000002C7C: 9220841E
	v_mul_lo_u32 v4, v4, s32                                   // 000000002C80: D2850004 00004104
	v_and_b32_e32 v5, 31, v0                                   // 000000002C88: 260A009F
	v_lshlrev_b32_e32 v5, 2, v5                                // 000000002C8C: 240A0A82
	v_add_u32_e32 v15, v4, v5                                  // 000000002C90: 681E0B04
	v_add_u32_e32 v15, s31, v15                                // 000000002C94: 681E1E1F

0000000000002c98 <label_00A6>:
	s_cmp_eq_u32 s53, 0                                        // 000000002C98: BF068035
	s_cbranch_scc0 label_00C2                                  // 000000002C9C: BF84001A
	s_mov_b32 s31, 0                                           // 000000002CA0: BE9F0080

0000000000002ca4 <label_00A9>:
	s_waitcnt lgkmcnt(0)                                       // 000000002CA4: BF8CC07F
	s_cmp_eq_u32 s63, s31                                      // 000000002CA8: BF061F3F
	s_cbranch_scc1 label_00AF                                  // 000000002CAC: BF850003
	s_load_dword s63, s[40:41], s62 glc                        // 000000002CB0: C0010FD4 0000003E
	s_branch label_00A9                                        // 000000002CB8: BF82FFFA

0000000000002cbc <label_00AF>:
	v_mov_b32_e32 v40, 0                                       // 000000002CBC: 7E500280
	v_mov_b32_e32 v41, 0                                       // 000000002CC0: 7E520280
	v_mov_b32_e32 v42, 0                                       // 000000002CC4: 7E540280
	v_mov_b32_e32 v43, 0                                       // 000000002CC8: 7E560280
	s_cmp_lt_u32 s54, 1                                        // 000000002CCC: BF0A8136
	s_cbranch_scc0 label_00BC                                  // 000000002CD0: BF840007
	buffer_store_dwordx4 v[40:43], v12, s[16:19], 0 offen sc0 nt sc1// 000000002CD4: E07ED000 8004280C
	buffer_store_dwordx4 v[40:43], v13, s[16:19], 0 offen sc0 nt sc1// 000000002CDC: E07ED000 8004280D
	buffer_store_dwordx4 v[40:43], v14, s[16:19], 0 offen sc0 nt sc1// 000000002CE4: E07ED000 8004280E
	s_branch label_00C2                                        // 000000002CEC: BF820006

0000000000002cf0 <label_00BC>:
	buffer_store_dwordx2 v[40:41], v12, s[16:19], 0 offen sc0 nt sc1// 000000002CF0: E076D000 8004280C
	buffer_store_dwordx2 v[40:41], v13, s[16:19], 0 offen sc0 nt sc1// 000000002CF8: E076D000 8004280D
	buffer_store_dwordx2 v[40:41], v14, s[16:19], 0 offen sc0 nt sc1// 000000002D00: E076D000 8004280E

0000000000002d08 <label_00C2>:
	s_mul_i32 s31, s28, s25                                    // 000000002D08: 921F191C
	s_mov_b32 s6, s31                                          // 000000002D0C: BE86001F
	s_mov_b32 s44, 0x80                                        // 000000002D10: BEAC00FF 00000080
	v_lshrrev_b32_e32 v4, 5, v0                                // 000000002D18: 20080085
	v_lshlrev_b32_e32 v4, 2, v4                                // 000000002D1C: 24080882
	v_mul_lo_u32 v16, v4, s28                                  // 000000002D20: D2850010 00003904
	v_and_b32_e32 v4, 31, v0                                   // 000000002D28: 2608009F
	v_lshlrev_b32_e32 v4, 2, v4                                // 000000002D2C: 24080882
	v_add_u32_e32 v16, v16, v4                                 // 000000002D30: 68200910
	s_mul_i32 s31, 8, s28                                      // 000000002D34: 921F1C88
	v_add_u32_e64 v17, v16, s31                                // 000000002D38: D1340011 00003F10
	v_add_u32_e64 v18, v17, s31                                // 000000002D40: D1340012 00003F11
	v_add_u32_e64 v19, v18, s31                                // 000000002D48: D1340013 00003F12
	v_add_u32_e64 v20, v19, s31                                // 000000002D50: D1340014 00003F13
	v_add_u32_e64 v21, v20, s31                                // 000000002D58: D1340015 00003F14
	s_mul_i32 s31, s23, 48                                     // 000000002D60: 921FB017
	s_add_u32 s31, s31, s24                                    // 000000002D64: 801F181F
	s_mul_i32 s32, s31, s28                                    // 000000002D68: 92201C1F
	v_add_u32_e64 v16, v16, s32                                // 000000002D6C: D1340010 00004110
	v_add_u32_e64 v17, v17, s32                                // 000000002D74: D1340011 00004111
	v_add_u32_e64 v18, v18, s32                                // 000000002D7C: D1340012 00004112
	v_add_u32_e64 v19, v19, s32                                // 000000002D84: D1340013 00004113
	v_add_u32_e64 v20, v20, s32                                // 000000002D8C: D1340014 00004114
	v_add_u32_e64 v21, v21, s32                                // 000000002D94: D1340015 00004115
	v_lshrrev_b32_e32 v4, 4, v0                                // 000000002D9C: 20080084
	v_lshlrev_b32_e32 v5, 2, v4                                // 000000002DA0: 240A0882
	v_and_b32_e32 v4, 15, v0                                   // 000000002DA4: 2608008F
	v_lshrrev_b32_e32 v6, 2, v4                                // 000000002DA8: 200C0882
	v_lshlrev_b32_e32 v6, 5, v6                                // 000000002DAC: 240C0C85
	v_add_u32_e32 v5, v6, v5                                   // 000000002DB0: 680A0B06
	v_and_b32_e32 v4, 3, v0                                    // 000000002DB4: 26080083
	v_mul_u32_u24_e32 v6, 0x188, v4                            // 000000002DB8: 100C08FF 00000188
	v_add_u32_e32 v5, v6, v5                                   // 000000002DC0: 680A0B06
	v_lshlrev_b32_e32 v22, 2, v5                               // 000000002DC4: 242C0A82
	s_mul_i32 s31, s24, 0x620                                  // 000000002DC8: 921FFF18 00000620
	s_add_u32 s46, 0, s31                                      // 000000002DD0: 802E1F80
	s_add_u32 s47, 0x1880, s46                                 // 000000002DD4: 802F2EFF 00001880
	s_add_u32 s48, 0x1880, s47                                 // 000000002DDC: 80302FFF 00001880
	s_mul_i32 s31, s29, s26                                    // 000000002DE4: 921F1A1D
	s_mov_b32 s10, s31                                         // 000000002DE8: BE8A001F
	s_mov_b32 s45, 0x800                                       // 000000002DEC: BEAD00FF 00000800
	v_lshlrev_b32_e32 v23, 4, v0                               // 000000002DF4: 242E0084
	s_mov_b32 s31, 0x400                                       // 000000002DF8: BE9F00FF 00000400
	v_add_u32_e64 v24, v23, s31                                // 000000002E00: D1340018 00003F17
	s_mul_i32 s31, s22, 64                                     // 000000002E08: 921FC016
	s_mul_i32 s32, 16, s24                                     // 000000002E0C: 92201890
	s_add_u32 s31, s31, s32                                    // 000000002E10: 801F201F
	s_mul_i32 s32, s31, s29                                    // 000000002E14: 92201D1F
	v_add_u32_e64 v23, v23, s32                                // 000000002E18: D1340017 00004117
	v_add_u32_e64 v24, v24, s32                                // 000000002E20: D1340018 00004118
	s_cmp_le_u32 s52, 1                                        // 000000002E28: BF0B8134
	s_cbranch_scc1 label_0146                                  // 000000002E2C: BF85003A
	s_lshr_b32 s32, s27, 6                                     // 000000002E30: 8F20861B
	v_cvt_f32_u32_e32 v4, s52                                  // 000000002E34: 7E080C34
	s_sub_i32 s31, 0, s52                                      // 000000002E38: 819F3480
	v_rcp_iflag_f32_e32 v4, v4                                 // 000000002E3C: 7E084704
	s_nop 0                                                    // 000000002E40: BF800000
	v_mul_f32_e32 v4, 0x4f7ffffe, v4                           // 000000002E44: 0A0808FF 4F7FFFFE
	v_cvt_u32_f32_e32 v4, v4                                   // 000000002E4C: 7E080F04
	v_mul_lo_u32 v5, s31, v4                                   // 000000002E50: D2850005 0002081F
	v_mul_hi_u32 v5, v4, v5                                    // 000000002E58: D2860005 00020B04
	v_add_u32_e32 v4, v4, v5                                   // 000000002E60: 68080B04
	v_mul_hi_u32 v4, s32, v4                                   // 000000002E64: D2860004 00020820
	v_mul_lo_u32 v5, v4, s52                                   // 000000002E6C: D2850005 00006904
	v_sub_u32_e32 v7, s32, v5                                  // 000000002E74: 6A0E0A20
	v_add_u32_e32 v6, 1, v4                                    // 000000002E78: 680C0881
	v_cmp_le_u32_e32 vcc, s52, v7                              // 000000002E7C: 7D960E34
	v_subrev_u32_e32 v5, s52, v7                               // 000000002E80: 6C0A0E34
	s_nop 0                                                    // 000000002E84: BF800000
	v_cndmask_b32_e32 v4, v4, v6, vcc                          // 000000002E88: 00080D04
	v_cndmask_b32_e32 v7, v7, v5, vcc                          // 000000002E8C: 000E0B07
	v_add_u32_e32 v5, 1, v4                                    // 000000002E90: 680A0881
	v_cmp_le_u32_e32 vcc, s52, v7                              // 000000002E94: 7D960E34
	s_nop 1                                                    // 000000002E98: BF800001
	v_cndmask_b32_e32 v7, v4, v5, vcc                          // 000000002E9C: 000E0B04
	s_nop 3                                                    // 000000002EA0: BF800003
	v_readfirstlane_b32 s32, v7                                // 000000002EA4: 7E400507
	s_nop 3                                                    // 000000002EA8: BF800003
	s_mul_i32 s32, s32, 64                                     // 000000002EAC: 9220C020
	s_mul_i32 s31, s53, s32                                    // 000000002EB0: 921F2035
	s_sub_i32 s56, s27, s31                                    // 000000002EB4: 81B81F1B
	s_sub_i32 s31, s52, 1                                      // 000000002EB8: 819F8134
	s_cmp_eq_i32 s53, s31                                      // 000000002EBC: BF001F35
	s_cselect_b32 s27, s56, s32                                // 000000002EC0: 851B2038
	s_mul_i32 s31, s32, 2                                      // 000000002EC4: 921F8220
	s_mul_i32 s31, s31, s53                                    // 000000002EC8: 921F351F
	v_add_u32_e64 v16, v16, s31                                // 000000002ECC: D1340010 00003F10
	v_add_u32_e64 v17, v17, s31                                // 000000002ED4: D1340011 00003F11
	v_add_u32_e64 v18, v18, s31                                // 000000002EDC: D1340012 00003F12
	v_add_u32_e64 v19, v19, s31                                // 000000002EE4: D1340013 00003F13
	v_add_u32_e64 v20, v20, s31                                // 000000002EEC: D1340014 00003F14
	v_add_u32_e64 v21, v21, s31                                // 000000002EF4: D1340015 00003F15
	s_mul_i32 s31, s32, 2                                      // 000000002EFC: 921F8220
	s_mul_i32 s31, s31, s53                                    // 000000002F00: 921F351F
	s_mul_i32 s31, s31, 16                                     // 000000002F04: 921F901F
	v_add_u32_e64 v23, v23, s31                                // 000000002F08: D1340017 00003F17
	v_add_u32_e64 v24, v24, s31                                // 000000002F10: D1340018 00003F18

0000000000002f18 <label_0146>:
	s_cmp_eq_u32 s61, 1                                        // 000000002F18: BF06813D
	s_cbranch_scc0 label_0175                                  // 000000002F1C: BF84002D
	s_cmp_eq_i32 s53, 0                                        // 000000002F20: BF008035
	s_cbranch_scc0 label_0175                                  // 000000002F24: BF84002B
	s_mul_i32 s31, 2, s26                                      // 000000002F28: 921F1A82
	s_mov_b32 s38, s31                                         // 000000002F2C: BEA6001F
	v_lshrrev_b32_e32 v4, 4, v0                                // 000000002F30: 20080084
	v_mul_i32_i24_e32 v46, 8, v4                               // 000000002F34: 0C5C0888
	s_mul_i32 s31, 32, s24                                     // 000000002F38: 921F18A0
	v_add_u32_e32 v46, s31, v46                                // 000000002F3C: 685C5C1F
	s_mul_i32 s32, s22, 64                                     // 000000002F40: 9220C016
	s_mul_i32 s32, s32, 2                                      // 000000002F44: 92208220
	v_add_u32_e32 v46, s32, v46                                // 000000002F48: 685C5C20
	v_mov_b32_e32 v48, 0                                       // 000000002F4C: 7E600280
	v_mov_b32_e32 v49, 0                                       // 000000002F50: 7E620280
	buffer_load_dwordx2 v[48:49], v46, s[36:39], 0 offen       // 000000002F54: E0541000 8009302E
	s_waitcnt vmcnt(0)                                         // 000000002F5C: BF8C0F70
	v_mov_b32_e32 v4, 0xffff0000                               // 000000002F60: 7E0802FF FFFF0000
	v_and_b32_e32 v4, v48, v4                                  // 000000002F68: 26080930
	v_mov_b32_e32 v5, 0xffff                                   // 000000002F6C: 7E0A02FF 0000FFFF
	v_and_b32_e32 v5, v48, v5                                  // 000000002F74: 260A0B30
	v_mov_b32_e32 v51, v4                                      // 000000002F78: 7E660304
	v_lshlrev_b32_e32 v50, 16, v5                              // 000000002F7C: 24640A90
	v_mov_b32_e32 v4, 0xffff0000                               // 000000002F80: 7E0802FF FFFF0000
	v_and_b32_e32 v4, v49, v4                                  // 000000002F88: 26080931
	v_mov_b32_e32 v5, 0xffff                                   // 000000002F8C: 7E0A02FF 0000FFFF
	v_and_b32_e32 v5, v49, v5                                  // 000000002F94: 260A0B31
	v_mov_b32_e32 v53, v4                                      // 000000002F98: 7E6A0304
	v_lshlrev_b32_e32 v52, 16, v5                              // 000000002F9C: 24680A90
	v_mov_b32_e32 v28, v50                                     // 000000002FA0: 7E380332
	v_mov_b32_e32 v29, v51                                     // 000000002FA4: 7E3A0333
	v_mov_b32_e32 v30, v52                                     // 000000002FA8: 7E3C0334
	v_mov_b32_e32 v31, v53                                     // 000000002FAC: 7E3E0335
	v_mov_b32_e32 v32, v50                                     // 000000002FB0: 7E400332
	v_mov_b32_e32 v33, v51                                     // 000000002FB4: 7E420333
	v_mov_b32_e32 v34, v52                                     // 000000002FB8: 7E440334
	v_mov_b32_e32 v35, v53                                     // 000000002FBC: 7E460335
	v_mov_b32_e32 v36, v50                                     // 000000002FC0: 7E480332
	v_mov_b32_e32 v37, v51                                     // 000000002FC4: 7E4A0333
	v_mov_b32_e32 v38, v52                                     // 000000002FC8: 7E4C0334
	v_mov_b32_e32 v39, v53                                     // 000000002FCC: 7E4E0335
	s_branch label_0181                                        // 000000002FD0: BF82000C

0000000000002fd4 <label_0175>:
	v_mov_b32_e32 v28, 0                                       // 000000002FD4: 7E380280
	v_mov_b32_e32 v29, 0                                       // 000000002FD8: 7E3A0280
	v_mov_b32_e32 v30, 0                                       // 000000002FDC: 7E3C0280
	v_mov_b32_e32 v31, 0                                       // 000000002FE0: 7E3E0280
	v_mov_b32_e32 v32, 0                                       // 000000002FE4: 7E400280
	v_mov_b32_e32 v33, 0                                       // 000000002FE8: 7E420280
	v_mov_b32_e32 v34, 0                                       // 000000002FEC: 7E440280
	v_mov_b32_e32 v35, 0                                       // 000000002FF0: 7E460280
	v_mov_b32_e32 v36, 0                                       // 000000002FF4: 7E480280
	v_mov_b32_e32 v37, 0                                       // 000000002FF8: 7E4A0280
	v_mov_b32_e32 v38, 0                                       // 000000002FFC: 7E4C0280
	v_mov_b32_e32 v39, 0                                       // 000000003000: 7E4E0280

0000000000003004 <label_0181>:
	s_add_u32 m0, 0, s46                                       // 000000003004: 807C2E80
	buffer_load_dword v16, s[4:7], 0 offen lds                 // 000000003008: E0511000 80010010
	s_add_u32 m0, 0x100, s46                                   // 000000003010: 807C2EFF 00000100
	buffer_load_dword v17, s[4:7], 0 offen lds                 // 000000003018: E0511000 80010011
	s_add_u32 m0, 0x200, s46                                   // 000000003020: 807C2EFF 00000200
	;; [unrolled: 2-line block ×5, first 2 shown]
	buffer_load_dword v21, s[4:7], 0 offen lds                 // 000000003058: E0511000 80010015
	s_add_u32 s4, s44, s4                                      // 000000003060: 8004042C
	s_addc_u32 s5, 0, s5                                       // 000000003064: 82050580
	s_sub_u32 s6, s6, s44                                      // 000000003068: 80862C06
	buffer_load_dwordx4 a[48:51], v23, s[8:11], 0 offen        // 00000000306C: E05C1000 80823017
	buffer_load_dwordx4 a[52:55], v24, s[8:11], 0 offen        // 000000003074: E05C1000 80823418
	s_add_u32 s8, s45, s8                                      // 00000000307C: 8008082D
	s_addc_u32 s9, 0, s9                                       // 000000003080: 82090980
	s_sub_u32 s10, s10, s45                                    // 000000003084: 808A2D0A
	s_add_u32 m0, 0, s47                                       // 000000003088: 807C2F80
	buffer_load_dword v16, s[4:7], 0 offen lds                 // 00000000308C: E0511000 80010010
	s_add_u32 m0, 0x100, s47                                   // 000000003094: 807C2FFF 00000100
	buffer_load_dword v17, s[4:7], 0 offen lds                 // 00000000309C: E0511000 80010011
	s_add_u32 m0, 0x200, s47                                   // 0000000030A4: 807C2FFF 00000200
	buffer_load_dword v18, s[4:7], 0 offen lds                 // 0000000030AC: E0511000 80010012
	s_add_u32 m0, 0x300, s47                                   // 0000000030B4: 807C2FFF 00000300
	buffer_load_dword v19, s[4:7], 0 offen lds                 // 0000000030BC: E0511000 80010013
	s_add_u32 m0, 0x400, s47                                   // 0000000030C4: 807C2FFF 00000400
	buffer_load_dword v20, s[4:7], 0 offen lds                 // 0000000030CC: E0511000 80010014
	s_add_u32 m0, 0x500, s47                                   // 0000000030D4: 807C2FFF 00000500
	buffer_load_dword v21, s[4:7], 0 offen lds                 // 0000000030DC: E0511000 80010015
	s_add_u32 s4, s44, s4                                      // 0000000030E4: 8004042C
	s_addc_u32 s5, 0, s5                                       // 0000000030E8: 82050580
	s_sub_u32 s6, s6, s44                                      // 0000000030EC: 80862C06
	buffer_load_dwordx4 a[56:59], v23, s[8:11], 0 offen        // 0000000030F0: E05C1000 80823817
	buffer_load_dwordx4 a[60:63], v24, s[8:11], 0 offen        // 0000000030F8: E05C1000 80823C18
	s_add_u32 s8, s45, s8                                      // 000000003100: 8008082D
	s_addc_u32 s9, 0, s9                                       // 000000003104: 82090980
	s_sub_u32 s10, s10, s45                                    // 000000003108: 808A2D0A
	s_add_u32 m0, 0, s48                                       // 00000000310C: 807C3080
	buffer_load_dword v16, s[4:7], 0 offen lds                 // 000000003110: E0511000 80010010
	s_add_u32 m0, 0x100, s48                                   // 000000003118: 807C30FF 00000100
	buffer_load_dword v17, s[4:7], 0 offen lds                 // 000000003120: E0511000 80010011
	s_add_u32 m0, 0x200, s48                                   // 000000003128: 807C30FF 00000200
	;; [unrolled: 2-line block ×5, first 2 shown]
	buffer_load_dword v21, s[4:7], 0 offen lds                 // 000000003160: E0511000 80010015
	s_add_u32 s4, s44, s4                                      // 000000003168: 8004042C
	s_addc_u32 s5, 0, s5                                       // 00000000316C: 82050580
	s_sub_u32 s6, s6, s44                                      // 000000003170: 80862C06
	s_mov_b32 s34, s27                                         // 000000003174: BEA2001B
	s_mov_b32 s33, 0                                           // 000000003178: BEA10080
	s_mul_i32 s31, s23, 48                                     // 00000000317C: 921FB017
	s_sub_i32 s55, s25, s31                                    // 000000003180: 81B71F19
	s_waitcnt vmcnt(16)                                        // 000000003184: BF8C4F70
	s_barrier                                                  // 000000003188: BF8A0000
	s_or_b32 s31, s53, s24                                     // 00000000318C: 871F1835
	s_cmp_eq_u32 s31, 0                                        // 000000003190: BF06801F
	s_cbranch_scc0 label_01E8                                  // 000000003194: BF840002
	s_store_dword s52, s[40:41], s62 glc                       // 000000003198: C0410D14 0000003E

00000000000031a0 <label_01E8>:
	ds_read_b128 a[0:3], v22                                   // 0000000031A0: DBFE0000 00000016
	ds_read_b128 a[4:7], v22 offset:64                         // 0000000031A8: DBFE0040 04000016
	ds_read_b128 a[8:11], v22 offset:512                       // 0000000031B0: DBFE0200 08000016
	ds_read_b128 a[12:15], v22 offset:576                      // 0000000031B8: DBFE0240 0C000016
	ds_read_b128 a[16:19], v22 offset:1024                     // 0000000031C0: DBFE0400 10000016
	ds_read_b128 a[20:23], v22 offset:1088                     // 0000000031C8: DBFE0440 14000016
	s_cmp_lt_i32 s24, 2                                        // 0000000031D0: BF048218
	s_cbranch_scc0 label_03D7                                  // 0000000031D4: BF8401E1

00000000000031d8 <label_01F6>:
	s_waitcnt vmcnt(8) lgkmcnt(0)                              // 0000000031D8: BF8C0078
	s_barrier                                                  // 0000000031DC: BF8A0000
	v_mfma_f32_16x16x16_bf16 v[28:31], a[48:49], a[0:1], v[28:31]// 0000000031E0: D3E1001C 1C720130
	s_add_u32 m0, 0, s46                                       // 0000000031E8: 807C2E80
	buffer_load_dword v16, s[4:7], 0 offen lds                 // 0000000031EC: E0511000 80010010
	v_mfma_f32_16x16x16_bf16 v[28:31], a[50:51], a[2:3], v[28:31]// 0000000031F4: D3E1001C 1C720532
	s_add_u32 m0, 0x100, s46                                   // 0000000031FC: 807C2EFF 00000100
	buffer_load_dword v17, s[4:7], 0 offen lds                 // 000000003204: E0511000 80010011
	ds_read_b128 a[24:27], v22 offset:6272                     // 00000000320C: DBFE1880 18000016
	ds_read_b128 a[28:31], v22 offset:6336                     // 000000003214: DBFE18C0 1C000016
	v_mfma_f32_16x16x16_bf16 v[28:31], a[52:53], a[4:5], v[28:31]// 00000000321C: D3E1001C 1C720934
	s_add_u32 m0, 0x200, s46                                   // 000000003224: 807C2EFF 00000200
	buffer_load_dword v18, s[4:7], 0 offen lds                 // 00000000322C: E0511000 80010012
	v_mfma_f32_16x16x16_bf16 v[28:31], a[54:55], a[6:7], v[28:31]// 000000003234: D3E1001C 1C720D36
	s_add_u32 m0, 0x300, s46                                   // 00000000323C: 807C2EFF 00000300
	buffer_load_dword v19, s[4:7], 0 offen lds                 // 000000003244: E0511000 80010013
	ds_read_b128 a[32:35], v22 offset:6784                     // 00000000324C: DBFE1A80 20000016
	ds_read_b128 a[36:39], v22 offset:6848                     // 000000003254: DBFE1AC0 24000016
	v_mfma_f32_16x16x16_bf16 v[32:35], a[48:49], a[8:9], v[32:35]// 00000000325C: D3E10020 1C821130
	s_add_u32 m0, 0x400, s46                                   // 000000003264: 807C2EFF 00000400
	buffer_load_dword v20, s[4:7], 0 offen lds                 // 00000000326C: E0511000 80010014
	v_mfma_f32_16x16x16_bf16 v[32:35], a[50:51], a[10:11], v[32:35]// 000000003274: D3E10020 1C821532
	s_add_u32 m0, 0x500, s46                                   // 00000000327C: 807C2EFF 00000500
	buffer_load_dword v21, s[4:7], 0 offen lds                 // 000000003284: E0511000 80010015
	ds_read_b128 a[40:43], v22 offset:7296                     // 00000000328C: DBFE1C80 28000016
	ds_read_b128 a[44:47], v22 offset:7360                     // 000000003294: DBFE1CC0 2C000016
	v_mfma_f32_16x16x16_bf16 v[32:35], a[52:53], a[12:13], v[32:35]// 00000000329C: D3E10020 1C821934
	s_add_u32 s31, 0x100, s33                                  // 0000000032A4: 801F21FF 00000100
	s_cmp_lt_u32 s31, s34                                      // 0000000032AC: BF0A221F
	s_cselect_b32 s44, s44, 0                                  // 0000000032B0: 852C802C
	buffer_load_dwordx4 a[64:67], v23, s[8:11], 0 offen        // 0000000032B4: E05C1000 80824017
	v_mfma_f32_16x16x16_bf16 v[32:35], a[54:55], a[14:15], v[32:35]// 0000000032BC: D3E10020 1C821D36
	buffer_load_dwordx4 a[68:71], v24, s[8:11], 0 offen        // 0000000032C4: E05C1000 80824418
	s_add_u32 s4, s44, s4                                      // 0000000032CC: 8004042C
	s_addc_u32 s5, 0, s5                                       // 0000000032D0: 82050580
	v_mfma_f32_16x16x16_bf16 v[36:39], a[48:49], a[16:17], v[36:39]// 0000000032D4: D3E10024 1C922130
	s_add_u32 s31, 0xc0, s33                                   // 0000000032DC: 801F21FF 000000C0
	s_cmp_lt_u32 s31, s34                                      // 0000000032E4: BF0A221F
	s_cselect_b32 s45, s45, 0                                  // 0000000032E8: 852D802D
	v_mfma_f32_16x16x16_bf16 v[36:39], a[50:51], a[18:19], v[36:39]// 0000000032EC: D3E10024 1C922532
	s_add_u32 s8, s45, s8                                      // 0000000032F4: 8008082D
	s_addc_u32 s9, 0, s9                                       // 0000000032F8: 82090980
	v_mfma_f32_16x16x16_bf16 v[36:39], a[52:53], a[20:21], v[36:39]// 0000000032FC: D3E10024 1C922934
	v_mfma_f32_16x16x16_bf16 v[36:39], a[54:55], a[22:23], v[36:39]// 000000003304: D3E10024 1C922D36
	s_addk_i32 s33, 0x40                                       // 00000000330C: B7210040
	s_cmp_lt_i32 s33, s34                                      // 000000003310: BF042221
	s_cbranch_scc0 label_05B8                                  // 000000003314: BF840372
	s_waitcnt vmcnt(8) lgkmcnt(0)                              // 000000003318: BF8C0078
	s_barrier                                                  // 00000000331C: BF8A0000
	v_mfma_f32_16x16x16_bf16 v[28:31], a[56:57], a[24:25], v[28:31]// 000000003320: D3E1001C 1C723138
	s_add_u32 m0, 0, s47                                       // 000000003328: 807C2F80
	buffer_load_dword v16, s[4:7], 0 offen lds                 // 00000000332C: E0511000 80010010
	v_mfma_f32_16x16x16_bf16 v[28:31], a[58:59], a[26:27], v[28:31]// 000000003334: D3E1001C 1C72353A
	s_add_u32 m0, 0x100, s47                                   // 00000000333C: 807C2FFF 00000100
	buffer_load_dword v17, s[4:7], 0 offen lds                 // 000000003344: E0511000 80010011
	ds_read_b128 a[0:3], v22 offset:12544                      // 00000000334C: DBFE3100 00000016
	ds_read_b128 a[4:7], v22 offset:12608                      // 000000003354: DBFE3140 04000016
	v_mfma_f32_16x16x16_bf16 v[28:31], a[60:61], a[28:29], v[28:31]// 00000000335C: D3E1001C 1C72393C
	s_add_u32 m0, 0x200, s47                                   // 000000003364: 807C2FFF 00000200
	buffer_load_dword v18, s[4:7], 0 offen lds                 // 00000000336C: E0511000 80010012
	v_mfma_f32_16x16x16_bf16 v[28:31], a[62:63], a[30:31], v[28:31]// 000000003374: D3E1001C 1C723D3E
	s_add_u32 m0, 0x300, s47                                   // 00000000337C: 807C2FFF 00000300
	buffer_load_dword v19, s[4:7], 0 offen lds                 // 000000003384: E0511000 80010013
	ds_read_b128 a[8:11], v22 offset:13056                     // 00000000338C: DBFE3300 08000016
	ds_read_b128 a[12:15], v22 offset:13120                    // 000000003394: DBFE3340 0C000016
	v_mfma_f32_16x16x16_bf16 v[32:35], a[56:57], a[32:33], v[32:35]// 00000000339C: D3E10020 1C824138
	s_add_u32 m0, 0x400, s47                                   // 0000000033A4: 807C2FFF 00000400
	buffer_load_dword v20, s[4:7], 0 offen lds                 // 0000000033AC: E0511000 80010014
	v_mfma_f32_16x16x16_bf16 v[32:35], a[58:59], a[34:35], v[32:35]// 0000000033B4: D3E10020 1C82453A
	s_add_u32 m0, 0x500, s47                                   // 0000000033BC: 807C2FFF 00000500
	buffer_load_dword v21, s[4:7], 0 offen lds                 // 0000000033C4: E0511000 80010015
	ds_read_b128 a[16:19], v22 offset:13568                    // 0000000033CC: DBFE3500 10000016
	ds_read_b128 a[20:23], v22 offset:13632                    // 0000000033D4: DBFE3540 14000016
	v_mfma_f32_16x16x16_bf16 v[32:35], a[60:61], a[36:37], v[32:35]// 0000000033DC: D3E10020 1C82493C
	s_add_u32 s31, 0x100, s33                                  // 0000000033E4: 801F21FF 00000100
	s_cmp_lt_u32 s31, s34                                      // 0000000033EC: BF0A221F
	s_cselect_b32 s44, s44, 0                                  // 0000000033F0: 852C802C
	buffer_load_dwordx4 a[48:51], v23, s[8:11], 0 offen        // 0000000033F4: E05C1000 80823017
	v_mfma_f32_16x16x16_bf16 v[32:35], a[62:63], a[38:39], v[32:35]// 0000000033FC: D3E10020 1C824D3E
	buffer_load_dwordx4 a[52:55], v24, s[8:11], 0 offen        // 000000003404: E05C1000 80823418
	s_add_u32 s4, s44, s4                                      // 00000000340C: 8004042C
	s_addc_u32 s5, 0, s5                                       // 000000003410: 82050580
	v_mfma_f32_16x16x16_bf16 v[36:39], a[56:57], a[40:41], v[36:39]// 000000003414: D3E10024 1C925138
	s_add_u32 s31, 0xc0, s33                                   // 00000000341C: 801F21FF 000000C0
	s_cmp_lt_u32 s31, s34                                      // 000000003424: BF0A221F
	s_cselect_b32 s45, s45, 0                                  // 000000003428: 852D802D
	v_mfma_f32_16x16x16_bf16 v[36:39], a[58:59], a[42:43], v[36:39]// 00000000342C: D3E10024 1C92553A
	s_add_u32 s8, s45, s8                                      // 000000003434: 8008082D
	s_addc_u32 s9, 0, s9                                       // 000000003438: 82090980
	v_mfma_f32_16x16x16_bf16 v[36:39], a[60:61], a[44:45], v[36:39]// 00000000343C: D3E10024 1C92593C
	v_mfma_f32_16x16x16_bf16 v[36:39], a[62:63], a[46:47], v[36:39]// 000000003444: D3E10024 1C925D3E
	s_addk_i32 s33, 0x40                                       // 00000000344C: B7210040
	s_cmp_lt_i32 s33, s34                                      // 000000003450: BF042221
	s_cbranch_scc0 label_05B8                                  // 000000003454: BF840322
	s_waitcnt vmcnt(8) lgkmcnt(0)                              // 000000003458: BF8C0078
	s_barrier                                                  // 00000000345C: BF8A0000
	v_mfma_f32_16x16x16_bf16 v[28:31], a[64:65], a[0:1], v[28:31]// 000000003460: D3E1001C 1C720140
	s_add_u32 m0, 0, s48                                       // 000000003468: 807C3080
	buffer_load_dword v16, s[4:7], 0 offen lds                 // 00000000346C: E0511000 80010010
	v_mfma_f32_16x16x16_bf16 v[28:31], a[66:67], a[2:3], v[28:31]// 000000003474: D3E1001C 1C720542
	s_add_u32 m0, 0x100, s48                                   // 00000000347C: 807C30FF 00000100
	buffer_load_dword v17, s[4:7], 0 offen lds                 // 000000003484: E0511000 80010011
	ds_read_b128 a[24:27], v22                                 // 00000000348C: DBFE0000 18000016
	ds_read_b128 a[28:31], v22 offset:64                       // 000000003494: DBFE0040 1C000016
	v_mfma_f32_16x16x16_bf16 v[28:31], a[68:69], a[4:5], v[28:31]// 00000000349C: D3E1001C 1C720944
	s_add_u32 m0, 0x200, s48                                   // 0000000034A4: 807C30FF 00000200
	buffer_load_dword v18, s[4:7], 0 offen lds                 // 0000000034AC: E0511000 80010012
	v_mfma_f32_16x16x16_bf16 v[28:31], a[70:71], a[6:7], v[28:31]// 0000000034B4: D3E1001C 1C720D46
	s_add_u32 m0, 0x300, s48                                   // 0000000034BC: 807C30FF 00000300
	buffer_load_dword v19, s[4:7], 0 offen lds                 // 0000000034C4: E0511000 80010013
	ds_read_b128 a[32:35], v22 offset:512                      // 0000000034CC: DBFE0200 20000016
	ds_read_b128 a[36:39], v22 offset:576                      // 0000000034D4: DBFE0240 24000016
	v_mfma_f32_16x16x16_bf16 v[32:35], a[64:65], a[8:9], v[32:35]// 0000000034DC: D3E10020 1C821140
	s_add_u32 m0, 0x400, s48                                   // 0000000034E4: 807C30FF 00000400
	buffer_load_dword v20, s[4:7], 0 offen lds                 // 0000000034EC: E0511000 80010014
	v_mfma_f32_16x16x16_bf16 v[32:35], a[66:67], a[10:11], v[32:35]// 0000000034F4: D3E10020 1C821542
	s_add_u32 m0, 0x500, s48                                   // 0000000034FC: 807C30FF 00000500
	buffer_load_dword v21, s[4:7], 0 offen lds                 // 000000003504: E0511000 80010015
	ds_read_b128 a[40:43], v22 offset:1024                     // 00000000350C: DBFE0400 28000016
	ds_read_b128 a[44:47], v22 offset:1088                     // 000000003514: DBFE0440 2C000016
	v_mfma_f32_16x16x16_bf16 v[32:35], a[68:69], a[12:13], v[32:35]// 00000000351C: D3E10020 1C821944
	s_add_u32 s31, 0x100, s33                                  // 000000003524: 801F21FF 00000100
	s_cmp_lt_u32 s31, s34                                      // 00000000352C: BF0A221F
	s_cselect_b32 s44, s44, 0                                  // 000000003530: 852C802C
	buffer_load_dwordx4 a[56:59], v23, s[8:11], 0 offen        // 000000003534: E05C1000 80823817
	v_mfma_f32_16x16x16_bf16 v[32:35], a[70:71], a[14:15], v[32:35]// 00000000353C: D3E10020 1C821D46
	buffer_load_dwordx4 a[60:63], v24, s[8:11], 0 offen        // 000000003544: E05C1000 80823C18
	s_add_u32 s4, s44, s4                                      // 00000000354C: 8004042C
	s_addc_u32 s5, 0, s5                                       // 000000003550: 82050580
	v_mfma_f32_16x16x16_bf16 v[36:39], a[64:65], a[16:17], v[36:39]// 000000003554: D3E10024 1C922140
	s_add_u32 s31, 0xc0, s33                                   // 00000000355C: 801F21FF 000000C0
	s_cmp_lt_u32 s31, s34                                      // 000000003564: BF0A221F
	s_cselect_b32 s45, s45, 0                                  // 000000003568: 852D802D
	v_mfma_f32_16x16x16_bf16 v[36:39], a[66:67], a[18:19], v[36:39]// 00000000356C: D3E10024 1C922542
	s_add_u32 s8, s45, s8                                      // 000000003574: 8008082D
	s_addc_u32 s9, 0, s9                                       // 000000003578: 82090980
	v_mfma_f32_16x16x16_bf16 v[36:39], a[68:69], a[20:21], v[36:39]// 00000000357C: D3E10024 1C922944
	v_mfma_f32_16x16x16_bf16 v[36:39], a[70:71], a[22:23], v[36:39]// 000000003584: D3E10024 1C922D46
	s_addk_i32 s33, 0x40                                       // 00000000358C: B7210040
	s_cmp_lt_i32 s33, s34                                      // 000000003590: BF042221
	s_cbranch_scc0 label_05B8                                  // 000000003594: BF8402D2
	s_waitcnt vmcnt(8) lgkmcnt(0)                              // 000000003598: BF8C0078
	s_barrier                                                  // 00000000359C: BF8A0000
	v_mfma_f32_16x16x16_bf16 v[28:31], a[48:49], a[24:25], v[28:31]// 0000000035A0: D3E1001C 1C723130
	s_add_u32 m0, 0, s46                                       // 0000000035A8: 807C2E80
	buffer_load_dword v16, s[4:7], 0 offen lds                 // 0000000035AC: E0511000 80010010
	v_mfma_f32_16x16x16_bf16 v[28:31], a[50:51], a[26:27], v[28:31]// 0000000035B4: D3E1001C 1C723532
	s_add_u32 m0, 0x100, s46                                   // 0000000035BC: 807C2EFF 00000100
	buffer_load_dword v17, s[4:7], 0 offen lds                 // 0000000035C4: E0511000 80010011
	ds_read_b128 a[0:3], v22 offset:6272                       // 0000000035CC: DBFE1880 00000016
	ds_read_b128 a[4:7], v22 offset:6336                       // 0000000035D4: DBFE18C0 04000016
	v_mfma_f32_16x16x16_bf16 v[28:31], a[52:53], a[28:29], v[28:31]// 0000000035DC: D3E1001C 1C723934
	s_add_u32 m0, 0x200, s46                                   // 0000000035E4: 807C2EFF 00000200
	buffer_load_dword v18, s[4:7], 0 offen lds                 // 0000000035EC: E0511000 80010012
	v_mfma_f32_16x16x16_bf16 v[28:31], a[54:55], a[30:31], v[28:31]// 0000000035F4: D3E1001C 1C723D36
	s_add_u32 m0, 0x300, s46                                   // 0000000035FC: 807C2EFF 00000300
	buffer_load_dword v19, s[4:7], 0 offen lds                 // 000000003604: E0511000 80010013
	ds_read_b128 a[8:11], v22 offset:6784                      // 00000000360C: DBFE1A80 08000016
	ds_read_b128 a[12:15], v22 offset:6848                     // 000000003614: DBFE1AC0 0C000016
	v_mfma_f32_16x16x16_bf16 v[32:35], a[48:49], a[32:33], v[32:35]// 00000000361C: D3E10020 1C824130
	s_add_u32 m0, 0x400, s46                                   // 000000003624: 807C2EFF 00000400
	buffer_load_dword v20, s[4:7], 0 offen lds                 // 00000000362C: E0511000 80010014
	v_mfma_f32_16x16x16_bf16 v[32:35], a[50:51], a[34:35], v[32:35]// 000000003634: D3E10020 1C824532
	s_add_u32 m0, 0x500, s46                                   // 00000000363C: 807C2EFF 00000500
	buffer_load_dword v21, s[4:7], 0 offen lds                 // 000000003644: E0511000 80010015
	ds_read_b128 a[16:19], v22 offset:7296                     // 00000000364C: DBFE1C80 10000016
	ds_read_b128 a[20:23], v22 offset:7360                     // 000000003654: DBFE1CC0 14000016
	v_mfma_f32_16x16x16_bf16 v[32:35], a[52:53], a[36:37], v[32:35]// 00000000365C: D3E10020 1C824934
	s_add_u32 s31, 0x100, s33                                  // 000000003664: 801F21FF 00000100
	s_cmp_lt_u32 s31, s34                                      // 00000000366C: BF0A221F
	s_cselect_b32 s44, s44, 0                                  // 000000003670: 852C802C
	buffer_load_dwordx4 a[64:67], v23, s[8:11], 0 offen        // 000000003674: E05C1000 80824017
	v_mfma_f32_16x16x16_bf16 v[32:35], a[54:55], a[38:39], v[32:35]// 00000000367C: D3E10020 1C824D36
	buffer_load_dwordx4 a[68:71], v24, s[8:11], 0 offen        // 000000003684: E05C1000 80824418
	s_add_u32 s4, s44, s4                                      // 00000000368C: 8004042C
	s_addc_u32 s5, 0, s5                                       // 000000003690: 82050580
	v_mfma_f32_16x16x16_bf16 v[36:39], a[48:49], a[40:41], v[36:39]// 000000003694: D3E10024 1C925130
	s_add_u32 s31, 0xc0, s33                                   // 00000000369C: 801F21FF 000000C0
	s_cmp_lt_u32 s31, s34                                      // 0000000036A4: BF0A221F
	s_cselect_b32 s45, s45, 0                                  // 0000000036A8: 852D802D
	v_mfma_f32_16x16x16_bf16 v[36:39], a[50:51], a[42:43], v[36:39]// 0000000036AC: D3E10024 1C925532
	s_add_u32 s8, s45, s8                                      // 0000000036B4: 8008082D
	s_addc_u32 s9, 0, s9                                       // 0000000036B8: 82090980
	v_mfma_f32_16x16x16_bf16 v[36:39], a[52:53], a[44:45], v[36:39]// 0000000036BC: D3E10024 1C925934
	v_mfma_f32_16x16x16_bf16 v[36:39], a[54:55], a[46:47], v[36:39]// 0000000036C4: D3E10024 1C925D36
	s_addk_i32 s33, 0x40                                       // 0000000036CC: B7210040
	s_cmp_lt_i32 s33, s34                                      // 0000000036D0: BF042221
	s_cbranch_scc0 label_05B8                                  // 0000000036D4: BF840282
	s_waitcnt vmcnt(8) lgkmcnt(0)                              // 0000000036D8: BF8C0078
	s_barrier                                                  // 0000000036DC: BF8A0000
	v_mfma_f32_16x16x16_bf16 v[28:31], a[56:57], a[0:1], v[28:31]// 0000000036E0: D3E1001C 1C720138
	s_add_u32 m0, 0, s47                                       // 0000000036E8: 807C2F80
	buffer_load_dword v16, s[4:7], 0 offen lds                 // 0000000036EC: E0511000 80010010
	v_mfma_f32_16x16x16_bf16 v[28:31], a[58:59], a[2:3], v[28:31]// 0000000036F4: D3E1001C 1C72053A
	s_add_u32 m0, 0x100, s47                                   // 0000000036FC: 807C2FFF 00000100
	buffer_load_dword v17, s[4:7], 0 offen lds                 // 000000003704: E0511000 80010011
	ds_read_b128 a[24:27], v22 offset:12544                    // 00000000370C: DBFE3100 18000016
	ds_read_b128 a[28:31], v22 offset:12608                    // 000000003714: DBFE3140 1C000016
	v_mfma_f32_16x16x16_bf16 v[28:31], a[60:61], a[4:5], v[28:31]// 00000000371C: D3E1001C 1C72093C
	s_add_u32 m0, 0x200, s47                                   // 000000003724: 807C2FFF 00000200
	buffer_load_dword v18, s[4:7], 0 offen lds                 // 00000000372C: E0511000 80010012
	v_mfma_f32_16x16x16_bf16 v[28:31], a[62:63], a[6:7], v[28:31]// 000000003734: D3E1001C 1C720D3E
	s_add_u32 m0, 0x300, s47                                   // 00000000373C: 807C2FFF 00000300
	buffer_load_dword v19, s[4:7], 0 offen lds                 // 000000003744: E0511000 80010013
	ds_read_b128 a[32:35], v22 offset:13056                    // 00000000374C: DBFE3300 20000016
	ds_read_b128 a[36:39], v22 offset:13120                    // 000000003754: DBFE3340 24000016
	v_mfma_f32_16x16x16_bf16 v[32:35], a[56:57], a[8:9], v[32:35]// 00000000375C: D3E10020 1C821138
	s_add_u32 m0, 0x400, s47                                   // 000000003764: 807C2FFF 00000400
	buffer_load_dword v20, s[4:7], 0 offen lds                 // 00000000376C: E0511000 80010014
	v_mfma_f32_16x16x16_bf16 v[32:35], a[58:59], a[10:11], v[32:35]// 000000003774: D3E10020 1C82153A
	s_add_u32 m0, 0x500, s47                                   // 00000000377C: 807C2FFF 00000500
	buffer_load_dword v21, s[4:7], 0 offen lds                 // 000000003784: E0511000 80010015
	ds_read_b128 a[40:43], v22 offset:13568                    // 00000000378C: DBFE3500 28000016
	ds_read_b128 a[44:47], v22 offset:13632                    // 000000003794: DBFE3540 2C000016
	v_mfma_f32_16x16x16_bf16 v[32:35], a[60:61], a[12:13], v[32:35]// 00000000379C: D3E10020 1C82193C
	s_add_u32 s31, 0x100, s33                                  // 0000000037A4: 801F21FF 00000100
	s_cmp_lt_u32 s31, s34                                      // 0000000037AC: BF0A221F
	s_cselect_b32 s44, s44, 0                                  // 0000000037B0: 852C802C
	buffer_load_dwordx4 a[48:51], v23, s[8:11], 0 offen        // 0000000037B4: E05C1000 80823017
	v_mfma_f32_16x16x16_bf16 v[32:35], a[62:63], a[14:15], v[32:35]// 0000000037BC: D3E10020 1C821D3E
	buffer_load_dwordx4 a[52:55], v24, s[8:11], 0 offen        // 0000000037C4: E05C1000 80823418
	s_add_u32 s4, s44, s4                                      // 0000000037CC: 8004042C
	s_addc_u32 s5, 0, s5                                       // 0000000037D0: 82050580
	v_mfma_f32_16x16x16_bf16 v[36:39], a[56:57], a[16:17], v[36:39]// 0000000037D4: D3E10024 1C922138
	s_add_u32 s31, 0xc0, s33                                   // 0000000037DC: 801F21FF 000000C0
	s_cmp_lt_u32 s31, s34                                      // 0000000037E4: BF0A221F
	s_cselect_b32 s45, s45, 0                                  // 0000000037E8: 852D802D
	v_mfma_f32_16x16x16_bf16 v[36:39], a[58:59], a[18:19], v[36:39]// 0000000037EC: D3E10024 1C92253A
	s_add_u32 s8, s45, s8                                      // 0000000037F4: 8008082D
	s_addc_u32 s9, 0, s9                                       // 0000000037F8: 82090980
	v_mfma_f32_16x16x16_bf16 v[36:39], a[60:61], a[20:21], v[36:39]// 0000000037FC: D3E10024 1C92293C
	v_mfma_f32_16x16x16_bf16 v[36:39], a[62:63], a[22:23], v[36:39]// 000000003804: D3E10024 1C922D3E
	s_addk_i32 s33, 0x40                                       // 00000000380C: B7210040
	s_cmp_lt_i32 s33, s34                                      // 000000003810: BF042221
	s_cbranch_scc0 label_05B8                                  // 000000003814: BF840232
	s_waitcnt vmcnt(8) lgkmcnt(0)                              // 000000003818: BF8C0078
	s_barrier                                                  // 00000000381C: BF8A0000
	v_mfma_f32_16x16x16_bf16 v[28:31], a[64:65], a[24:25], v[28:31]// 000000003820: D3E1001C 1C723140
	s_add_u32 m0, 0, s48                                       // 000000003828: 807C3080
	buffer_load_dword v16, s[4:7], 0 offen lds                 // 00000000382C: E0511000 80010010
	v_mfma_f32_16x16x16_bf16 v[28:31], a[66:67], a[26:27], v[28:31]// 000000003834: D3E1001C 1C723542
	s_add_u32 m0, 0x100, s48                                   // 00000000383C: 807C30FF 00000100
	buffer_load_dword v17, s[4:7], 0 offen lds                 // 000000003844: E0511000 80010011
	ds_read_b128 a[0:3], v22                                   // 00000000384C: DBFE0000 00000016
	ds_read_b128 a[4:7], v22 offset:64                         // 000000003854: DBFE0040 04000016
	v_mfma_f32_16x16x16_bf16 v[28:31], a[68:69], a[28:29], v[28:31]// 00000000385C: D3E1001C 1C723944
	s_add_u32 m0, 0x200, s48                                   // 000000003864: 807C30FF 00000200
	buffer_load_dword v18, s[4:7], 0 offen lds                 // 00000000386C: E0511000 80010012
	v_mfma_f32_16x16x16_bf16 v[28:31], a[70:71], a[30:31], v[28:31]// 000000003874: D3E1001C 1C723D46
	s_add_u32 m0, 0x300, s48                                   // 00000000387C: 807C30FF 00000300
	buffer_load_dword v19, s[4:7], 0 offen lds                 // 000000003884: E0511000 80010013
	ds_read_b128 a[8:11], v22 offset:512                       // 00000000388C: DBFE0200 08000016
	ds_read_b128 a[12:15], v22 offset:576                      // 000000003894: DBFE0240 0C000016
	v_mfma_f32_16x16x16_bf16 v[32:35], a[64:65], a[32:33], v[32:35]// 00000000389C: D3E10020 1C824140
	s_add_u32 m0, 0x400, s48                                   // 0000000038A4: 807C30FF 00000400
	buffer_load_dword v20, s[4:7], 0 offen lds                 // 0000000038AC: E0511000 80010014
	v_mfma_f32_16x16x16_bf16 v[32:35], a[66:67], a[34:35], v[32:35]// 0000000038B4: D3E10020 1C824542
	s_add_u32 m0, 0x500, s48                                   // 0000000038BC: 807C30FF 00000500
	buffer_load_dword v21, s[4:7], 0 offen lds                 // 0000000038C4: E0511000 80010015
	ds_read_b128 a[16:19], v22 offset:1024                     // 0000000038CC: DBFE0400 10000016
	ds_read_b128 a[20:23], v22 offset:1088                     // 0000000038D4: DBFE0440 14000016
	v_mfma_f32_16x16x16_bf16 v[32:35], a[68:69], a[36:37], v[32:35]// 0000000038DC: D3E10020 1C824944
	s_add_u32 s31, 0x100, s33                                  // 0000000038E4: 801F21FF 00000100
	s_cmp_lt_u32 s31, s34                                      // 0000000038EC: BF0A221F
	s_cselect_b32 s44, s44, 0                                  // 0000000038F0: 852C802C
	buffer_load_dwordx4 a[56:59], v23, s[8:11], 0 offen        // 0000000038F4: E05C1000 80823817
	v_mfma_f32_16x16x16_bf16 v[32:35], a[70:71], a[38:39], v[32:35]// 0000000038FC: D3E10020 1C824D46
	buffer_load_dwordx4 a[60:63], v24, s[8:11], 0 offen        // 000000003904: E05C1000 80823C18
	s_add_u32 s4, s44, s4                                      // 00000000390C: 8004042C
	s_addc_u32 s5, 0, s5                                       // 000000003910: 82050580
	v_mfma_f32_16x16x16_bf16 v[36:39], a[64:65], a[40:41], v[36:39]// 000000003914: D3E10024 1C925140
	s_add_u32 s31, 0xc0, s33                                   // 00000000391C: 801F21FF 000000C0
	s_cmp_lt_u32 s31, s34                                      // 000000003924: BF0A221F
	s_cselect_b32 s45, s45, 0                                  // 000000003928: 852D802D
	v_mfma_f32_16x16x16_bf16 v[36:39], a[66:67], a[42:43], v[36:39]// 00000000392C: D3E10024 1C925542
	s_add_u32 s8, s45, s8                                      // 000000003934: 8008082D
	s_addc_u32 s9, 0, s9                                       // 000000003938: 82090980
	v_mfma_f32_16x16x16_bf16 v[36:39], a[68:69], a[44:45], v[36:39]// 00000000393C: D3E10024 1C925944
	v_mfma_f32_16x16x16_bf16 v[36:39], a[70:71], a[46:47], v[36:39]// 000000003944: D3E10024 1C925D46
	s_addk_i32 s33, 0x40                                       // 00000000394C: B7210040
	s_cmp_lt_i32 s33, s34                                      // 000000003950: BF042221
	s_cbranch_scc0 label_05B8                                  // 000000003954: BF8401E2
	s_branch label_01F6                                        // 000000003958: BF82FE1F

000000000000395c <label_03D7>:
	s_waitcnt vmcnt(8) lgkmcnt(0)                              // 00000000395C: BF8C0078
	s_barrier                                                  // 000000003960: BF8A0000
	v_mfma_f32_16x16x16_bf16 v[28:31], a[48:49], a[0:1], v[28:31]// 000000003964: D3E1001C 1C720130
	s_add_u32 m0, 0, s46                                       // 00000000396C: 807C2E80
	buffer_load_dword v16, s[4:7], 0 offen lds                 // 000000003970: E0511000 80010010
	ds_read_b128 a[24:27], v22 offset:6272                     // 000000003978: DBFE1880 18000016
	ds_read_b128 a[28:31], v22 offset:6336                     // 000000003980: DBFE18C0 1C000016
	v_mfma_f32_16x16x16_bf16 v[28:31], a[50:51], a[2:3], v[28:31]// 000000003988: D3E1001C 1C720532
	s_add_u32 m0, 0x100, s46                                   // 000000003990: 807C2EFF 00000100
	buffer_load_dword v17, s[4:7], 0 offen lds                 // 000000003998: E0511000 80010011
	v_mfma_f32_16x16x16_bf16 v[28:31], a[52:53], a[4:5], v[28:31]// 0000000039A0: D3E1001C 1C720934
	s_add_u32 m0, 0x200, s46                                   // 0000000039A8: 807C2EFF 00000200
	buffer_load_dword v18, s[4:7], 0 offen lds                 // 0000000039B0: E0511000 80010012
	ds_read_b128 a[32:35], v22 offset:6784                     // 0000000039B8: DBFE1A80 20000016
	ds_read_b128 a[36:39], v22 offset:6848                     // 0000000039C0: DBFE1AC0 24000016
	v_mfma_f32_16x16x16_bf16 v[28:31], a[54:55], a[6:7], v[28:31]// 0000000039C8: D3E1001C 1C720D36
	s_add_u32 m0, 0x300, s46                                   // 0000000039D0: 807C2EFF 00000300
	buffer_load_dword v19, s[4:7], 0 offen lds                 // 0000000039D8: E0511000 80010013
	v_mfma_f32_16x16x16_bf16 v[32:35], a[48:49], a[8:9], v[32:35]// 0000000039E0: D3E10020 1C821130
	s_add_u32 m0, 0x400, s46                                   // 0000000039E8: 807C2EFF 00000400
	buffer_load_dword v20, s[4:7], 0 offen lds                 // 0000000039F0: E0511000 80010014
	ds_read_b128 a[40:43], v22 offset:7296                     // 0000000039F8: DBFE1C80 28000016
	ds_read_b128 a[44:47], v22 offset:7360                     // 000000003A00: DBFE1CC0 2C000016
	v_mfma_f32_16x16x16_bf16 v[32:35], a[50:51], a[10:11], v[32:35]// 000000003A08: D3E10020 1C821532
	s_add_u32 m0, 0x500, s46                                   // 000000003A10: 807C2EFF 00000500
	buffer_load_dword v21, s[4:7], 0 offen lds                 // 000000003A18: E0511000 80010015
	v_mfma_f32_16x16x16_bf16 v[32:35], a[52:53], a[12:13], v[32:35]// 000000003A20: D3E10020 1C821934
	s_add_u32 s31, 0x100, s33                                  // 000000003A28: 801F21FF 00000100
	s_cmp_lt_u32 s31, s34                                      // 000000003A30: BF0A221F
	s_cselect_b32 s44, s44, 0                                  // 000000003A34: 852C802C
	buffer_load_dwordx4 a[64:67], v23, s[8:11], 0 offen        // 000000003A38: E05C1000 80824017
	s_add_u32 s4, s44, s4                                      // 000000003A40: 8004042C
	s_addc_u32 s5, 0, s5                                       // 000000003A44: 82050580
	v_mfma_f32_16x16x16_bf16 v[32:35], a[54:55], a[14:15], v[32:35]// 000000003A48: D3E10020 1C821D36
	buffer_load_dwordx4 a[68:71], v24, s[8:11], 0 offen        // 000000003A50: E05C1000 80824418
	v_mfma_f32_16x16x16_bf16 v[36:39], a[48:49], a[16:17], v[36:39]// 000000003A58: D3E10024 1C922130
	s_add_u32 s31, 0xc0, s33                                   // 000000003A60: 801F21FF 000000C0
	s_cmp_lt_u32 s31, s34                                      // 000000003A68: BF0A221F
	s_cselect_b32 s45, s45, 0                                  // 000000003A6C: 852D802D
	s_add_u32 s8, s45, s8                                      // 000000003A70: 8008082D
	s_addc_u32 s9, 0, s9                                       // 000000003A74: 82090980
	v_mfma_f32_16x16x16_bf16 v[36:39], a[50:51], a[18:19], v[36:39]// 000000003A78: D3E10024 1C922532
	v_mfma_f32_16x16x16_bf16 v[36:39], a[52:53], a[20:21], v[36:39]// 000000003A80: D3E10024 1C922934
	v_mfma_f32_16x16x16_bf16 v[36:39], a[54:55], a[22:23], v[36:39]// 000000003A88: D3E10024 1C922D36
	s_addk_i32 s33, 0x40                                       // 000000003A90: B7210040
	s_cmp_lt_i32 s33, s34                                      // 000000003A94: BF042221
	s_cbranch_scc0 label_05B8                                  // 000000003A98: BF840191
	s_waitcnt vmcnt(8) lgkmcnt(0)                              // 000000003A9C: BF8C0078
	s_barrier                                                  // 000000003AA0: BF8A0000
	v_mfma_f32_16x16x16_bf16 v[28:31], a[56:57], a[24:25], v[28:31]// 000000003AA4: D3E1001C 1C723138
	s_add_u32 m0, 0, s47                                       // 000000003AAC: 807C2F80
	buffer_load_dword v16, s[4:7], 0 offen lds                 // 000000003AB0: E0511000 80010010
	ds_read_b128 a[0:3], v22 offset:12544                      // 000000003AB8: DBFE3100 00000016
	ds_read_b128 a[4:7], v22 offset:12608                      // 000000003AC0: DBFE3140 04000016
	v_mfma_f32_16x16x16_bf16 v[28:31], a[58:59], a[26:27], v[28:31]// 000000003AC8: D3E1001C 1C72353A
	s_add_u32 m0, 0x100, s47                                   // 000000003AD0: 807C2FFF 00000100
	buffer_load_dword v17, s[4:7], 0 offen lds                 // 000000003AD8: E0511000 80010011
	v_mfma_f32_16x16x16_bf16 v[28:31], a[60:61], a[28:29], v[28:31]// 000000003AE0: D3E1001C 1C72393C
	s_add_u32 m0, 0x200, s47                                   // 000000003AE8: 807C2FFF 00000200
	buffer_load_dword v18, s[4:7], 0 offen lds                 // 000000003AF0: E0511000 80010012
	ds_read_b128 a[8:11], v22 offset:13056                     // 000000003AF8: DBFE3300 08000016
	ds_read_b128 a[12:15], v22 offset:13120                    // 000000003B00: DBFE3340 0C000016
	v_mfma_f32_16x16x16_bf16 v[28:31], a[62:63], a[30:31], v[28:31]// 000000003B08: D3E1001C 1C723D3E
	s_add_u32 m0, 0x300, s47                                   // 000000003B10: 807C2FFF 00000300
	buffer_load_dword v19, s[4:7], 0 offen lds                 // 000000003B18: E0511000 80010013
	v_mfma_f32_16x16x16_bf16 v[32:35], a[56:57], a[32:33], v[32:35]// 000000003B20: D3E10020 1C824138
	s_add_u32 m0, 0x400, s47                                   // 000000003B28: 807C2FFF 00000400
	buffer_load_dword v20, s[4:7], 0 offen lds                 // 000000003B30: E0511000 80010014
	ds_read_b128 a[16:19], v22 offset:13568                    // 000000003B38: DBFE3500 10000016
	ds_read_b128 a[20:23], v22 offset:13632                    // 000000003B40: DBFE3540 14000016
	v_mfma_f32_16x16x16_bf16 v[32:35], a[58:59], a[34:35], v[32:35]// 000000003B48: D3E10020 1C82453A
	s_add_u32 m0, 0x500, s47                                   // 000000003B50: 807C2FFF 00000500
	buffer_load_dword v21, s[4:7], 0 offen lds                 // 000000003B58: E0511000 80010015
	v_mfma_f32_16x16x16_bf16 v[32:35], a[60:61], a[36:37], v[32:35]// 000000003B60: D3E10020 1C82493C
	s_add_u32 s31, 0x100, s33                                  // 000000003B68: 801F21FF 00000100
	s_cmp_lt_u32 s31, s34                                      // 000000003B70: BF0A221F
	s_cselect_b32 s44, s44, 0                                  // 000000003B74: 852C802C
	buffer_load_dwordx4 a[48:51], v23, s[8:11], 0 offen        // 000000003B78: E05C1000 80823017
	s_add_u32 s4, s44, s4                                      // 000000003B80: 8004042C
	s_addc_u32 s5, 0, s5                                       // 000000003B84: 82050580
	v_mfma_f32_16x16x16_bf16 v[32:35], a[62:63], a[38:39], v[32:35]// 000000003B88: D3E10020 1C824D3E
	buffer_load_dwordx4 a[52:55], v24, s[8:11], 0 offen        // 000000003B90: E05C1000 80823418
	v_mfma_f32_16x16x16_bf16 v[36:39], a[56:57], a[40:41], v[36:39]// 000000003B98: D3E10024 1C925138
	s_add_u32 s31, 0xc0, s33                                   // 000000003BA0: 801F21FF 000000C0
	s_cmp_lt_u32 s31, s34                                      // 000000003BA8: BF0A221F
	s_cselect_b32 s45, s45, 0                                  // 000000003BAC: 852D802D
	s_add_u32 s8, s45, s8                                      // 000000003BB0: 8008082D
	s_addc_u32 s9, 0, s9                                       // 000000003BB4: 82090980
	v_mfma_f32_16x16x16_bf16 v[36:39], a[58:59], a[42:43], v[36:39]// 000000003BB8: D3E10024 1C92553A
	v_mfma_f32_16x16x16_bf16 v[36:39], a[60:61], a[44:45], v[36:39]// 000000003BC0: D3E10024 1C92593C
	v_mfma_f32_16x16x16_bf16 v[36:39], a[62:63], a[46:47], v[36:39]// 000000003BC8: D3E10024 1C925D3E
	s_addk_i32 s33, 0x40                                       // 000000003BD0: B7210040
	s_cmp_lt_i32 s33, s34                                      // 000000003BD4: BF042221
	s_cbranch_scc0 label_05B8                                  // 000000003BD8: BF840141
	s_waitcnt vmcnt(8) lgkmcnt(0)                              // 000000003BDC: BF8C0078
	s_barrier                                                  // 000000003BE0: BF8A0000
	v_mfma_f32_16x16x16_bf16 v[28:31], a[64:65], a[0:1], v[28:31]// 000000003BE4: D3E1001C 1C720140
	s_add_u32 m0, 0, s48                                       // 000000003BEC: 807C3080
	buffer_load_dword v16, s[4:7], 0 offen lds                 // 000000003BF0: E0511000 80010010
	ds_read_b128 a[24:27], v22                                 // 000000003BF8: DBFE0000 18000016
	ds_read_b128 a[28:31], v22 offset:64                       // 000000003C00: DBFE0040 1C000016
	v_mfma_f32_16x16x16_bf16 v[28:31], a[66:67], a[2:3], v[28:31]// 000000003C08: D3E1001C 1C720542
	s_add_u32 m0, 0x100, s48                                   // 000000003C10: 807C30FF 00000100
	buffer_load_dword v17, s[4:7], 0 offen lds                 // 000000003C18: E0511000 80010011
	v_mfma_f32_16x16x16_bf16 v[28:31], a[68:69], a[4:5], v[28:31]// 000000003C20: D3E1001C 1C720944
	s_add_u32 m0, 0x200, s48                                   // 000000003C28: 807C30FF 00000200
	buffer_load_dword v18, s[4:7], 0 offen lds                 // 000000003C30: E0511000 80010012
	ds_read_b128 a[32:35], v22 offset:512                      // 000000003C38: DBFE0200 20000016
	ds_read_b128 a[36:39], v22 offset:576                      // 000000003C40: DBFE0240 24000016
	v_mfma_f32_16x16x16_bf16 v[28:31], a[70:71], a[6:7], v[28:31]// 000000003C48: D3E1001C 1C720D46
	s_add_u32 m0, 0x300, s48                                   // 000000003C50: 807C30FF 00000300
	buffer_load_dword v19, s[4:7], 0 offen lds                 // 000000003C58: E0511000 80010013
	v_mfma_f32_16x16x16_bf16 v[32:35], a[64:65], a[8:9], v[32:35]// 000000003C60: D3E10020 1C821140
	s_add_u32 m0, 0x400, s48                                   // 000000003C68: 807C30FF 00000400
	buffer_load_dword v20, s[4:7], 0 offen lds                 // 000000003C70: E0511000 80010014
	ds_read_b128 a[40:43], v22 offset:1024                     // 000000003C78: DBFE0400 28000016
	ds_read_b128 a[44:47], v22 offset:1088                     // 000000003C80: DBFE0440 2C000016
	v_mfma_f32_16x16x16_bf16 v[32:35], a[66:67], a[10:11], v[32:35]// 000000003C88: D3E10020 1C821542
	s_add_u32 m0, 0x500, s48                                   // 000000003C90: 807C30FF 00000500
	buffer_load_dword v21, s[4:7], 0 offen lds                 // 000000003C98: E0511000 80010015
	v_mfma_f32_16x16x16_bf16 v[32:35], a[68:69], a[12:13], v[32:35]// 000000003CA0: D3E10020 1C821944
	s_add_u32 s31, 0x100, s33                                  // 000000003CA8: 801F21FF 00000100
	s_cmp_lt_u32 s31, s34                                      // 000000003CB0: BF0A221F
	s_cselect_b32 s44, s44, 0                                  // 000000003CB4: 852C802C
	buffer_load_dwordx4 a[56:59], v23, s[8:11], 0 offen        // 000000003CB8: E05C1000 80823817
	s_add_u32 s4, s44, s4                                      // 000000003CC0: 8004042C
	s_addc_u32 s5, 0, s5                                       // 000000003CC4: 82050580
	v_mfma_f32_16x16x16_bf16 v[32:35], a[70:71], a[14:15], v[32:35]// 000000003CC8: D3E10020 1C821D46
	buffer_load_dwordx4 a[60:63], v24, s[8:11], 0 offen        // 000000003CD0: E05C1000 80823C18
	v_mfma_f32_16x16x16_bf16 v[36:39], a[64:65], a[16:17], v[36:39]// 000000003CD8: D3E10024 1C922140
	s_add_u32 s31, 0xc0, s33                                   // 000000003CE0: 801F21FF 000000C0
	s_cmp_lt_u32 s31, s34                                      // 000000003CE8: BF0A221F
	s_cselect_b32 s45, s45, 0                                  // 000000003CEC: 852D802D
	s_add_u32 s8, s45, s8                                      // 000000003CF0: 8008082D
	s_addc_u32 s9, 0, s9                                       // 000000003CF4: 82090980
	v_mfma_f32_16x16x16_bf16 v[36:39], a[66:67], a[18:19], v[36:39]// 000000003CF8: D3E10024 1C922542
	v_mfma_f32_16x16x16_bf16 v[36:39], a[68:69], a[20:21], v[36:39]// 000000003D00: D3E10024 1C922944
	v_mfma_f32_16x16x16_bf16 v[36:39], a[70:71], a[22:23], v[36:39]// 000000003D08: D3E10024 1C922D46
	s_addk_i32 s33, 0x40                                       // 000000003D10: B7210040
	s_cmp_lt_i32 s33, s34                                      // 000000003D14: BF042221
	s_cbranch_scc0 label_05B8                                  // 000000003D18: BF8400F1
	s_waitcnt vmcnt(8) lgkmcnt(0)                              // 000000003D1C: BF8C0078
	s_barrier                                                  // 000000003D20: BF8A0000
	v_mfma_f32_16x16x16_bf16 v[28:31], a[48:49], a[24:25], v[28:31]// 000000003D24: D3E1001C 1C723130
	s_add_u32 m0, 0, s46                                       // 000000003D2C: 807C2E80
	buffer_load_dword v16, s[4:7], 0 offen lds                 // 000000003D30: E0511000 80010010
	ds_read_b128 a[0:3], v22 offset:6272                       // 000000003D38: DBFE1880 00000016
	ds_read_b128 a[4:7], v22 offset:6336                       // 000000003D40: DBFE18C0 04000016
	v_mfma_f32_16x16x16_bf16 v[28:31], a[50:51], a[26:27], v[28:31]// 000000003D48: D3E1001C 1C723532
	s_add_u32 m0, 0x100, s46                                   // 000000003D50: 807C2EFF 00000100
	buffer_load_dword v17, s[4:7], 0 offen lds                 // 000000003D58: E0511000 80010011
	v_mfma_f32_16x16x16_bf16 v[28:31], a[52:53], a[28:29], v[28:31]// 000000003D60: D3E1001C 1C723934
	s_add_u32 m0, 0x200, s46                                   // 000000003D68: 807C2EFF 00000200
	buffer_load_dword v18, s[4:7], 0 offen lds                 // 000000003D70: E0511000 80010012
	ds_read_b128 a[8:11], v22 offset:6784                      // 000000003D78: DBFE1A80 08000016
	ds_read_b128 a[12:15], v22 offset:6848                     // 000000003D80: DBFE1AC0 0C000016
	v_mfma_f32_16x16x16_bf16 v[28:31], a[54:55], a[30:31], v[28:31]// 000000003D88: D3E1001C 1C723D36
	s_add_u32 m0, 0x300, s46                                   // 000000003D90: 807C2EFF 00000300
	buffer_load_dword v19, s[4:7], 0 offen lds                 // 000000003D98: E0511000 80010013
	v_mfma_f32_16x16x16_bf16 v[32:35], a[48:49], a[32:33], v[32:35]// 000000003DA0: D3E10020 1C824130
	s_add_u32 m0, 0x400, s46                                   // 000000003DA8: 807C2EFF 00000400
	buffer_load_dword v20, s[4:7], 0 offen lds                 // 000000003DB0: E0511000 80010014
	ds_read_b128 a[16:19], v22 offset:7296                     // 000000003DB8: DBFE1C80 10000016
	ds_read_b128 a[20:23], v22 offset:7360                     // 000000003DC0: DBFE1CC0 14000016
	v_mfma_f32_16x16x16_bf16 v[32:35], a[50:51], a[34:35], v[32:35]// 000000003DC8: D3E10020 1C824532
	s_add_u32 m0, 0x500, s46                                   // 000000003DD0: 807C2EFF 00000500
	buffer_load_dword v21, s[4:7], 0 offen lds                 // 000000003DD8: E0511000 80010015
	v_mfma_f32_16x16x16_bf16 v[32:35], a[52:53], a[36:37], v[32:35]// 000000003DE0: D3E10020 1C824934
	s_add_u32 s31, 0x100, s33                                  // 000000003DE8: 801F21FF 00000100
	s_cmp_lt_u32 s31, s34                                      // 000000003DF0: BF0A221F
	s_cselect_b32 s44, s44, 0                                  // 000000003DF4: 852C802C
	buffer_load_dwordx4 a[64:67], v23, s[8:11], 0 offen        // 000000003DF8: E05C1000 80824017
	s_add_u32 s4, s44, s4                                      // 000000003E00: 8004042C
	s_addc_u32 s5, 0, s5                                       // 000000003E04: 82050580
	v_mfma_f32_16x16x16_bf16 v[32:35], a[54:55], a[38:39], v[32:35]// 000000003E08: D3E10020 1C824D36
	buffer_load_dwordx4 a[68:71], v24, s[8:11], 0 offen        // 000000003E10: E05C1000 80824418
	v_mfma_f32_16x16x16_bf16 v[36:39], a[48:49], a[40:41], v[36:39]// 000000003E18: D3E10024 1C925130
	s_add_u32 s31, 0xc0, s33                                   // 000000003E20: 801F21FF 000000C0
	s_cmp_lt_u32 s31, s34                                      // 000000003E28: BF0A221F
	s_cselect_b32 s45, s45, 0                                  // 000000003E2C: 852D802D
	s_add_u32 s8, s45, s8                                      // 000000003E30: 8008082D
	s_addc_u32 s9, 0, s9                                       // 000000003E34: 82090980
	v_mfma_f32_16x16x16_bf16 v[36:39], a[50:51], a[42:43], v[36:39]// 000000003E38: D3E10024 1C925532
	v_mfma_f32_16x16x16_bf16 v[36:39], a[52:53], a[44:45], v[36:39]// 000000003E40: D3E10024 1C925934
	v_mfma_f32_16x16x16_bf16 v[36:39], a[54:55], a[46:47], v[36:39]// 000000003E48: D3E10024 1C925D36
	s_addk_i32 s33, 0x40                                       // 000000003E50: B7210040
	s_cmp_lt_i32 s33, s34                                      // 000000003E54: BF042221
	s_cbranch_scc0 label_05B8                                  // 000000003E58: BF8400A1
	s_waitcnt vmcnt(8) lgkmcnt(0)                              // 000000003E5C: BF8C0078
	s_barrier                                                  // 000000003E60: BF8A0000
	v_mfma_f32_16x16x16_bf16 v[28:31], a[56:57], a[0:1], v[28:31]// 000000003E64: D3E1001C 1C720138
	s_add_u32 m0, 0, s47                                       // 000000003E6C: 807C2F80
	buffer_load_dword v16, s[4:7], 0 offen lds                 // 000000003E70: E0511000 80010010
	ds_read_b128 a[24:27], v22 offset:12544                    // 000000003E78: DBFE3100 18000016
	ds_read_b128 a[28:31], v22 offset:12608                    // 000000003E80: DBFE3140 1C000016
	v_mfma_f32_16x16x16_bf16 v[28:31], a[58:59], a[2:3], v[28:31]// 000000003E88: D3E1001C 1C72053A
	s_add_u32 m0, 0x100, s47                                   // 000000003E90: 807C2FFF 00000100
	buffer_load_dword v17, s[4:7], 0 offen lds                 // 000000003E98: E0511000 80010011
	v_mfma_f32_16x16x16_bf16 v[28:31], a[60:61], a[4:5], v[28:31]// 000000003EA0: D3E1001C 1C72093C
	s_add_u32 m0, 0x200, s47                                   // 000000003EA8: 807C2FFF 00000200
	buffer_load_dword v18, s[4:7], 0 offen lds                 // 000000003EB0: E0511000 80010012
	ds_read_b128 a[32:35], v22 offset:13056                    // 000000003EB8: DBFE3300 20000016
	ds_read_b128 a[36:39], v22 offset:13120                    // 000000003EC0: DBFE3340 24000016
	v_mfma_f32_16x16x16_bf16 v[28:31], a[62:63], a[6:7], v[28:31]// 000000003EC8: D3E1001C 1C720D3E
	s_add_u32 m0, 0x300, s47                                   // 000000003ED0: 807C2FFF 00000300
	buffer_load_dword v19, s[4:7], 0 offen lds                 // 000000003ED8: E0511000 80010013
	v_mfma_f32_16x16x16_bf16 v[32:35], a[56:57], a[8:9], v[32:35]// 000000003EE0: D3E10020 1C821138
	s_add_u32 m0, 0x400, s47                                   // 000000003EE8: 807C2FFF 00000400
	buffer_load_dword v20, s[4:7], 0 offen lds                 // 000000003EF0: E0511000 80010014
	ds_read_b128 a[40:43], v22 offset:13568                    // 000000003EF8: DBFE3500 28000016
	ds_read_b128 a[44:47], v22 offset:13632                    // 000000003F00: DBFE3540 2C000016
	v_mfma_f32_16x16x16_bf16 v[32:35], a[58:59], a[10:11], v[32:35]// 000000003F08: D3E10020 1C82153A
	s_add_u32 m0, 0x500, s47                                   // 000000003F10: 807C2FFF 00000500
	buffer_load_dword v21, s[4:7], 0 offen lds                 // 000000003F18: E0511000 80010015
	v_mfma_f32_16x16x16_bf16 v[32:35], a[60:61], a[12:13], v[32:35]// 000000003F20: D3E10020 1C82193C
	s_add_u32 s31, 0x100, s33                                  // 000000003F28: 801F21FF 00000100
	s_cmp_lt_u32 s31, s34                                      // 000000003F30: BF0A221F
	s_cselect_b32 s44, s44, 0                                  // 000000003F34: 852C802C
	buffer_load_dwordx4 a[48:51], v23, s[8:11], 0 offen        // 000000003F38: E05C1000 80823017
	s_add_u32 s4, s44, s4                                      // 000000003F40: 8004042C
	s_addc_u32 s5, 0, s5                                       // 000000003F44: 82050580
	v_mfma_f32_16x16x16_bf16 v[32:35], a[62:63], a[14:15], v[32:35]// 000000003F48: D3E10020 1C821D3E
	buffer_load_dwordx4 a[52:55], v24, s[8:11], 0 offen        // 000000003F50: E05C1000 80823418
	v_mfma_f32_16x16x16_bf16 v[36:39], a[56:57], a[16:17], v[36:39]// 000000003F58: D3E10024 1C922138
	s_add_u32 s31, 0xc0, s33                                   // 000000003F60: 801F21FF 000000C0
	s_cmp_lt_u32 s31, s34                                      // 000000003F68: BF0A221F
	s_cselect_b32 s45, s45, 0                                  // 000000003F6C: 852D802D
	s_add_u32 s8, s45, s8                                      // 000000003F70: 8008082D
	s_addc_u32 s9, 0, s9                                       // 000000003F74: 82090980
	v_mfma_f32_16x16x16_bf16 v[36:39], a[58:59], a[18:19], v[36:39]// 000000003F78: D3E10024 1C92253A
	v_mfma_f32_16x16x16_bf16 v[36:39], a[60:61], a[20:21], v[36:39]// 000000003F80: D3E10024 1C92293C
	v_mfma_f32_16x16x16_bf16 v[36:39], a[62:63], a[22:23], v[36:39]// 000000003F88: D3E10024 1C922D3E
	s_addk_i32 s33, 0x40                                       // 000000003F90: B7210040
	s_cmp_lt_i32 s33, s34                                      // 000000003F94: BF042221
	s_cbranch_scc0 label_05B8                                  // 000000003F98: BF840051
	s_waitcnt vmcnt(8) lgkmcnt(0)                              // 000000003F9C: BF8C0078
	s_barrier                                                  // 000000003FA0: BF8A0000
	v_mfma_f32_16x16x16_bf16 v[28:31], a[64:65], a[24:25], v[28:31]// 000000003FA4: D3E1001C 1C723140
	s_add_u32 m0, 0, s48                                       // 000000003FAC: 807C3080
	buffer_load_dword v16, s[4:7], 0 offen lds                 // 000000003FB0: E0511000 80010010
	ds_read_b128 a[0:3], v22                                   // 000000003FB8: DBFE0000 00000016
	ds_read_b128 a[4:7], v22 offset:64                         // 000000003FC0: DBFE0040 04000016
	v_mfma_f32_16x16x16_bf16 v[28:31], a[66:67], a[26:27], v[28:31]// 000000003FC8: D3E1001C 1C723542
	s_add_u32 m0, 0x100, s48                                   // 000000003FD0: 807C30FF 00000100
	buffer_load_dword v17, s[4:7], 0 offen lds                 // 000000003FD8: E0511000 80010011
	v_mfma_f32_16x16x16_bf16 v[28:31], a[68:69], a[28:29], v[28:31]// 000000003FE0: D3E1001C 1C723944
	s_add_u32 m0, 0x200, s48                                   // 000000003FE8: 807C30FF 00000200
	buffer_load_dword v18, s[4:7], 0 offen lds                 // 000000003FF0: E0511000 80010012
	ds_read_b128 a[8:11], v22 offset:512                       // 000000003FF8: DBFE0200 08000016
	ds_read_b128 a[12:15], v22 offset:576                      // 000000004000: DBFE0240 0C000016
	v_mfma_f32_16x16x16_bf16 v[28:31], a[70:71], a[30:31], v[28:31]// 000000004008: D3E1001C 1C723D46
	s_add_u32 m0, 0x300, s48                                   // 000000004010: 807C30FF 00000300
	buffer_load_dword v19, s[4:7], 0 offen lds                 // 000000004018: E0511000 80010013
	v_mfma_f32_16x16x16_bf16 v[32:35], a[64:65], a[32:33], v[32:35]// 000000004020: D3E10020 1C824140
	s_add_u32 m0, 0x400, s48                                   // 000000004028: 807C30FF 00000400
	buffer_load_dword v20, s[4:7], 0 offen lds                 // 000000004030: E0511000 80010014
	ds_read_b128 a[16:19], v22 offset:1024                     // 000000004038: DBFE0400 10000016
	ds_read_b128 a[20:23], v22 offset:1088                     // 000000004040: DBFE0440 14000016
	v_mfma_f32_16x16x16_bf16 v[32:35], a[66:67], a[34:35], v[32:35]// 000000004048: D3E10020 1C824542
	s_add_u32 m0, 0x500, s48                                   // 000000004050: 807C30FF 00000500
	buffer_load_dword v21, s[4:7], 0 offen lds                 // 000000004058: E0511000 80010015
	v_mfma_f32_16x16x16_bf16 v[32:35], a[68:69], a[36:37], v[32:35]// 000000004060: D3E10020 1C824944
	s_add_u32 s31, 0x100, s33                                  // 000000004068: 801F21FF 00000100
	s_cmp_lt_u32 s31, s34                                      // 000000004070: BF0A221F
	s_cselect_b32 s44, s44, 0                                  // 000000004074: 852C802C
	buffer_load_dwordx4 a[56:59], v23, s[8:11], 0 offen        // 000000004078: E05C1000 80823817
	s_add_u32 s4, s44, s4                                      // 000000004080: 8004042C
	s_addc_u32 s5, 0, s5                                       // 000000004084: 82050580
	v_mfma_f32_16x16x16_bf16 v[32:35], a[70:71], a[38:39], v[32:35]// 000000004088: D3E10020 1C824D46
	buffer_load_dwordx4 a[60:63], v24, s[8:11], 0 offen        // 000000004090: E05C1000 80823C18
	v_mfma_f32_16x16x16_bf16 v[36:39], a[64:65], a[40:41], v[36:39]// 000000004098: D3E10024 1C925140
	s_add_u32 s31, 0xc0, s33                                   // 0000000040A0: 801F21FF 000000C0
	s_cmp_lt_u32 s31, s34                                      // 0000000040A8: BF0A221F
	s_cselect_b32 s45, s45, 0                                  // 0000000040AC: 852D802D
	s_add_u32 s8, s45, s8                                      // 0000000040B0: 8008082D
	s_addc_u32 s9, 0, s9                                       // 0000000040B4: 82090980
	v_mfma_f32_16x16x16_bf16 v[36:39], a[66:67], a[42:43], v[36:39]// 0000000040B8: D3E10024 1C925542
	v_mfma_f32_16x16x16_bf16 v[36:39], a[68:69], a[44:45], v[36:39]// 0000000040C0: D3E10024 1C925944
	v_mfma_f32_16x16x16_bf16 v[36:39], a[70:71], a[46:47], v[36:39]// 0000000040C8: D3E10024 1C925D46
	s_addk_i32 s33, 0x40                                       // 0000000040D0: B7210040
	s_cmp_lt_i32 s33, s34                                      // 0000000040D4: BF042221
	s_cbranch_scc0 label_05B8                                  // 0000000040D8: BF840001
	s_branch label_03D7                                        // 0000000040DC: BF82FE1F

00000000000040e0 <label_05B8>:
	s_cmp_le_u32 s52, 1                                        // 0000000040E0: BF0B8134
	s_cbranch_scc1 label_089D                                  // 0000000040E4: BF8502E3
	s_mov_b32 s31, 48                                          // 0000000040E8: BE9F00B0
	s_cmp_lt_u32 s55, s31                                      // 0000000040EC: BF0A1F37
	s_cbranch_scc1 label_06E2                                  // 0000000040F0: BF850125
	v_mov_b32_e32 v5, 0                                        // 0000000040F4: 7E0A0280
	s_and_b32 s17, s17, 0xffff                                 // 0000000040F8: 8611FF11 0000FFFF
	s_cmp_lt_u32 s54, 1                                        // 000000004100: BF0A8136
	s_cbranch_scc0 label_0639                                  // 000000004104: BF840077
	v_lshrrev_b32_e32 v4, 4, v0                                // 000000004108: 20080084
	v_mul_u32_u24_e32 v22, 0x44, v4                            // 00000000410C: 102C08FF 00000044
	v_and_b32_e32 v4, 15, v0                                   // 000000004114: 2608008F
	v_mul_lo_u32 v5, 4, v4                                     // 000000004118: D2850005 00020884
	v_add_u32_e32 v22, v5, v22                                 // 000000004120: 682C2D05
	s_mul_i32 s31, s24, 0x110                                  // 000000004124: 921FFF18 00000110
	v_add_u32_e32 v22, s31, v22                                // 00000000412C: 682C2C1F
	v_lshlrev_b32_e32 v22, 2, v22                              // 000000004130: 242C2C82
	v_lshrrev_b32_e32 v4, 2, v0                                // 000000004134: 20080082
	v_mul_u32_u24_e32 v25, 0x44, v4                            // 000000004138: 103208FF 00000044
	v_and_b32_e32 v4, 3, v0                                    // 000000004140: 26080083
	v_add_u32_e32 v25, v4, v25                                 // 000000004144: 68323304
	s_mul_i32 s31, s24, 4                                      // 000000004148: 921F8418
	v_add_u32_e32 v25, s31, v25                                // 00000000414C: 6832321F
	v_lshlrev_b32_e32 v25, 2, v25                              // 000000004150: 24323282
	s_waitcnt vmcnt(0) expcnt(0) lgkmcnt(0)                    // 000000004154: BF8C0000
	s_barrier                                                  // 000000004158: BF8A0000
	ds_write_b128 v22, v[28:31]                                // 00000000415C: D9BE0000 00001C16
	ds_write_b128 v22, v[32:35] offset:4352                    // 000000004164: D9BE1100 00002016
	ds_write_b128 v22, v[36:39] offset:8704                    // 00000000416C: D9BE2200 00002416
	s_waitcnt lgkmcnt(0)                                       // 000000004174: BF8CC07F
	s_barrier                                                  // 000000004178: BF8A0000
	ds_read_b32 v28, v25                                       // 00000000417C: D86C0000 1C000019
	ds_read_b32 v29, v25 offset:64                             // 000000004184: D86C0040 1D000019
	ds_read_b32 v30, v25 offset:128                            // 00000000418C: D86C0080 1E000019
	ds_read_b32 v31, v25 offset:192                            // 000000004194: D86C00C0 1F000019
	ds_read_b32 v32, v25 offset:4352                           // 00000000419C: D86C1100 20000019
	ds_read_b32 v33, v25 offset:4416                           // 0000000041A4: D86C1140 21000019
	ds_read_b32 v34, v25 offset:4480                           // 0000000041AC: D86C1180 22000019
	ds_read_b32 v35, v25 offset:4544                           // 0000000041B4: D86C11C0 23000019
	ds_read_b32 v36, v25 offset:8704                           // 0000000041BC: D86C2200 24000019
	ds_read_b32 v37, v25 offset:8768                           // 0000000041C4: D86C2240 25000019
	ds_read_b32 v38, v25 offset:8832                           // 0000000041CC: D86C2280 26000019
	ds_read_b32 v39, v25 offset:8896                           // 0000000041D4: D86C22C0 27000019
	s_waitcnt lgkmcnt(0)                                       // 0000000041DC: BF8CC07F
	s_cmp_eq_u32 s24, 0                                        // 0000000041E0: BF068018
	s_cbranch_scc0 label_0600                                  // 0000000041E4: BF840006
	s_mov_b32 s31, 0                                           // 0000000041E8: BE9F0080

00000000000041ec <label_05FB>:
	s_load_dword s32, s[40:41], s62 glc                        // 0000000041EC: C0010814 0000003E
	s_waitcnt lgkmcnt(0)                                       // 0000000041F4: BF8CC07F
	s_cmp_gt_u32 s32, s31                                      // 0000000041F8: BF081F20
	s_cbranch_scc0 label_05FB                                  // 0000000041FC: BF84FFFB

0000000000004200 <label_0600>:
	s_barrier                                                  // 000000004200: BF8A0000
	s_mul_i32 s31, s30, 4                                      // 000000004204: 921F841E
	v_mov_b32_e32 v4, v15                                      // 000000004208: 7E08030F
	global_atomic_add_f32 v4, v28, s[16:17]                    // 00000000420C: DD348000 00101C04
	v_add_u32_e64 v4, v4, s31                                  // 000000004214: D1340004 00003F04
	global_atomic_add_f32 v4, v29, s[16:17]                    // 00000000421C: DD348000 00101D04
	v_add_u32_e64 v4, v4, s31                                  // 000000004224: D1340004 00003F04
	global_atomic_add_f32 v4, v30, s[16:17]                    // 00000000422C: DD348000 00101E04
	v_add_u32_e64 v4, v4, s31                                  // 000000004234: D1340004 00003F04
	global_atomic_add_f32 v4, v31, s[16:17]                    // 00000000423C: DD348000 00101F04
	v_add_u32_e64 v4, v4, s31                                  // 000000004244: D1340004 00003F04
	global_atomic_add_f32 v4, v32, s[16:17]                    // 00000000424C: DD348000 00102004
	v_add_u32_e64 v4, v4, s31                                  // 000000004254: D1340004 00003F04
	global_atomic_add_f32 v4, v33, s[16:17]                    // 00000000425C: DD348000 00102104
	v_add_u32_e64 v4, v4, s31                                  // 000000004264: D1340004 00003F04
	global_atomic_add_f32 v4, v34, s[16:17]                    // 00000000426C: DD348000 00102204
	v_add_u32_e64 v4, v4, s31                                  // 000000004274: D1340004 00003F04
	global_atomic_add_f32 v4, v35, s[16:17]                    // 00000000427C: DD348000 00102304
	v_add_u32_e64 v4, v4, s31                                  // 000000004284: D1340004 00003F04
	global_atomic_add_f32 v4, v36, s[16:17]                    // 00000000428C: DD348000 00102404
	v_add_u32_e64 v4, v4, s31                                  // 000000004294: D1340004 00003F04
	global_atomic_add_f32 v4, v37, s[16:17]                    // 00000000429C: DD348000 00102504
	v_add_u32_e64 v4, v4, s31                                  // 0000000042A4: D1340004 00003F04
	global_atomic_add_f32 v4, v38, s[16:17]                    // 0000000042AC: DD348000 00102604
	v_add_u32_e64 v4, v4, s31                                  // 0000000042B4: D1340004 00003F04
	global_atomic_add_f32 v4, v39, s[16:17]                    // 0000000042BC: DD348000 00102704
	v_add_u32_e64 v4, v4, s31                                  // 0000000042C4: D1340004 00003F04
	s_barrier                                                  // 0000000042CC: BF8A0000
	s_cmp_eq_u32 s24, 0                                        // 0000000042D0: BF068018
	s_cbranch_scc0 label_0900                                  // 0000000042D4: BF8402CA
	s_atomic_dec s52, s[40:41], s62                            // 0000000042D8: C2300D14 0000003E
	s_branch label_0900                                        // 0000000042E0: BF8202C7

00000000000042e4 <label_0639>:
	v_lshrrev_b32_e32 v4, 4, v0                                // 0000000042E4: 20080084
	v_mul_u32_u24_e32 v22, 34, v4                              // 0000000042E8: 102C08A2
	v_and_b32_e32 v4, 15, v0                                   // 0000000042EC: 2608008F
	v_mul_lo_u32 v5, 2, v4                                     // 0000000042F0: D2850005 00020882
	v_add_u32_e32 v22, v5, v22                                 // 0000000042F8: 682C2D05
	s_mul_i32 s31, s24, 0x88                                   // 0000000042FC: 921FFF18 00000088
	v_add_u32_e32 v22, s31, v22                                // 000000004304: 682C2C1F
	v_lshlrev_b32_e32 v22, 2, v22                              // 000000004308: 242C2C82
	v_and_b32_e32 v4, 31, v0                                   // 00000000430C: 2608009F
	v_lshrrev_b32_e32 v5, 1, v4                                // 000000004310: 200A0881
	v_mul_u32_u24_e32 v25, 34, v5                              // 000000004314: 10320AA2
	v_and_b32_e32 v5, 1, v4                                    // 000000004318: 260A0881
	v_add_u32_e32 v25, v5, v25                                 // 00000000431C: 68323305
	v_lshrrev_b32_e32 v4, 5, v0                                // 000000004320: 20080085
	v_mul_u32_u24_e32 v4, 8, v4                                // 000000004324: 10080888
	v_add_u32_e32 v25, v4, v25                                 // 000000004328: 68323304
	s_mul_i32 s31, s24, 2                                      // 00000000432C: 921F8218
	v_add_u32_e32 v25, s31, v25                                // 000000004330: 6832321F
	v_lshlrev_b32_e32 v25, 2, v25                              // 000000004334: 24323282
	s_waitcnt vmcnt(0) expcnt(0) lgkmcnt(0)                    // 000000004338: BF8C0000
	s_barrier                                                  // 00000000433C: BF8A0000
	v_cmp_u_f32_e64 s[60:61], v28, v28                         // 000000004340: D048003C 0002391C
	v_add3_u32 v8, v28, v11, 1                                 // 000000004348: D1FF0008 0206171C
	v_cndmask_b32_e64 v4, v8, v10, s[60:61]                    // 000000004350: D1000004 00F21508
	v_cmp_u_f32_e64 s[60:61], v29, v29                         // 000000004358: D048003C 00023B1D
	v_add3_u32 v8, v29, v11, 1                                 // 000000004360: D1FF0008 0206171D
	v_cndmask_b32_e64 v5, v8, v10, s[60:61]                    // 000000004368: D1000005 00F21508
	v_perm_b32 v40, v5, v4, s35                                // 000000004370: D1ED0028 008E0905
	v_cmp_u_f32_e64 s[60:61], v30, v30                         // 000000004378: D048003C 00023D1E
	v_add3_u32 v8, v30, v11, 1                                 // 000000004380: D1FF0008 0206171E
	v_cndmask_b32_e64 v4, v8, v10, s[60:61]                    // 000000004388: D1000004 00F21508
	v_cmp_u_f32_e64 s[60:61], v31, v31                         // 000000004390: D048003C 00023F1F
	v_add3_u32 v8, v31, v11, 1                                 // 000000004398: D1FF0008 0206171F
	v_cndmask_b32_e64 v5, v8, v10, s[60:61]                    // 0000000043A0: D1000005 00F21508
	v_perm_b32 v41, v5, v4, s35                                // 0000000043A8: D1ED0029 008E0905
	v_cmp_u_f32_e64 s[60:61], v32, v32                         // 0000000043B0: D048003C 00024120
	v_add3_u32 v8, v32, v11, 1                                 // 0000000043B8: D1FF0008 02061720
	v_cndmask_b32_e64 v4, v8, v10, s[60:61]                    // 0000000043C0: D1000004 00F21508
	v_cmp_u_f32_e64 s[60:61], v33, v33                         // 0000000043C8: D048003C 00024321
	v_add3_u32 v8, v33, v11, 1                                 // 0000000043D0: D1FF0008 02061721
	v_cndmask_b32_e64 v5, v8, v10, s[60:61]                    // 0000000043D8: D1000005 00F21508
	v_perm_b32 v42, v5, v4, s35                                // 0000000043E0: D1ED002A 008E0905
	v_cmp_u_f32_e64 s[60:61], v34, v34                         // 0000000043E8: D048003C 00024522
	v_add3_u32 v8, v34, v11, 1                                 // 0000000043F0: D1FF0008 02061722
	v_cndmask_b32_e64 v4, v8, v10, s[60:61]                    // 0000000043F8: D1000004 00F21508
	v_cmp_u_f32_e64 s[60:61], v35, v35                         // 000000004400: D048003C 00024723
	v_add3_u32 v8, v35, v11, 1                                 // 000000004408: D1FF0008 02061723
	v_cndmask_b32_e64 v5, v8, v10, s[60:61]                    // 000000004410: D1000005 00F21508
	v_perm_b32 v43, v5, v4, s35                                // 000000004418: D1ED002B 008E0905
	v_cmp_u_f32_e64 s[60:61], v36, v36                         // 000000004420: D048003C 00024924
	v_add3_u32 v8, v36, v11, 1                                 // 000000004428: D1FF0008 02061724
	v_cndmask_b32_e64 v4, v8, v10, s[60:61]                    // 000000004430: D1000004 00F21508
	v_cmp_u_f32_e64 s[60:61], v37, v37                         // 000000004438: D048003C 00024B25
	v_add3_u32 v8, v37, v11, 1                                 // 000000004440: D1FF0008 02061725
	v_cndmask_b32_e64 v5, v8, v10, s[60:61]                    // 000000004448: D1000005 00F21508
	v_perm_b32 v44, v5, v4, s35                                // 000000004450: D1ED002C 008E0905
	v_cmp_u_f32_e64 s[60:61], v38, v38                         // 000000004458: D048003C 00024D26
	v_add3_u32 v8, v38, v11, 1                                 // 000000004460: D1FF0008 02061726
	v_cndmask_b32_e64 v4, v8, v10, s[60:61]                    // 000000004468: D1000004 00F21508
	v_cmp_u_f32_e64 s[60:61], v39, v39                         // 000000004470: D048003C 00024F27
	v_add3_u32 v8, v39, v11, 1                                 // 000000004478: D1FF0008 02061727
	v_cndmask_b32_e64 v5, v8, v10, s[60:61]                    // 000000004480: D1000005 00F21508
	v_perm_b32 v45, v5, v4, s35                                // 000000004488: D1ED002D 008E0905
	ds_write_b64 v22, v[40:41]                                 // 000000004490: D89A0000 00002816
	ds_write_b64 v22, v[42:43] offset:2176                     // 000000004498: D89A0880 00002A16
	ds_write_b64 v22, v[44:45] offset:4352                     // 0000000044A0: D89A1100 00002C16
	s_waitcnt lgkmcnt(0)                                       // 0000000044A8: BF8CC07F
	s_barrier                                                  // 0000000044AC: BF8A0000
	ds_read_b32 v40, v25                                       // 0000000044B0: D86C0000 28000019
	ds_read_b32 v41, v25 offset:64                             // 0000000044B8: D86C0040 29000019
	ds_read_b32 v42, v25 offset:2176                           // 0000000044C0: D86C0880 2A000019
	ds_read_b32 v43, v25 offset:2240                           // 0000000044C8: D86C08C0 2B000019
	ds_read_b32 v44, v25 offset:4352                           // 0000000044D0: D86C1100 2C000019
	ds_read_b32 v45, v25 offset:4416                           // 0000000044D8: D86C1140 2D000019
	s_waitcnt lgkmcnt(0)                                       // 0000000044E0: BF8CC07F
	s_cmp_eq_u32 s24, 0                                        // 0000000044E4: BF068018
	s_cbranch_scc0 label_06C1                                  // 0000000044E8: BF840006
	s_mov_b32 s31, 0                                           // 0000000044EC: BE9F0080

00000000000044f0 <label_06BC>:
	s_load_dword s32, s[40:41], s62 glc                        // 0000000044F0: C0010814 0000003E
	s_waitcnt lgkmcnt(0)                                       // 0000000044F8: BF8CC07F
	s_cmp_gt_u32 s32, s31                                      // 0000000044FC: BF081F20
	s_cbranch_scc0 label_06BC                                  // 000000004500: BF84FFFB

0000000000004504 <label_06C1>:
	s_barrier                                                  // 000000004504: BF8A0000
	s_mul_i32 s31, s30, 8                                      // 000000004508: 921F881E
	v_mov_b32_e32 v4, v15                                      // 00000000450C: 7E08030F
	global_atomic_pk_add_bf16 v4, v40, s[16:17]                // 000000004510: DD488000 00102804
	v_add_u32_e64 v4, v4, s31                                  // 000000004518: D1340004 00003F04
	global_atomic_pk_add_bf16 v4, v41, s[16:17]                // 000000004520: DD488000 00102904
	v_add_u32_e64 v4, v4, s31                                  // 000000004528: D1340004 00003F04
	global_atomic_pk_add_bf16 v4, v42, s[16:17]                // 000000004530: DD488000 00102A04
	v_add_u32_e64 v4, v4, s31                                  // 000000004538: D1340004 00003F04
	global_atomic_pk_add_bf16 v4, v43, s[16:17]                // 000000004540: DD488000 00102B04
	v_add_u32_e64 v4, v4, s31                                  // 000000004548: D1340004 00003F04
	global_atomic_pk_add_bf16 v4, v44, s[16:17]                // 000000004550: DD488000 00102C04
	v_add_u32_e64 v4, v4, s31                                  // 000000004558: D1340004 00003F04
	global_atomic_pk_add_bf16 v4, v45, s[16:17]                // 000000004560: DD488000 00102D04
	v_add_u32_e64 v4, v4, s31                                  // 000000004568: D1340004 00003F04
	s_barrier                                                  // 000000004570: BF8A0000
	s_cmp_eq_u32 s24, 0                                        // 000000004574: BF068018
	s_cbranch_scc0 label_0900                                  // 000000004578: BF840221
	s_atomic_dec s52, s[40:41], s62                            // 00000000457C: C2300D14 0000003E
	s_branch label_0900                                        // 000000004584: BF82021E

0000000000004588 <label_06E2>:
	v_mov_b32_e32 v5, 0                                        // 000000004588: 7E0A0280
	s_and_b32 s17, s17, 0xffff                                 // 00000000458C: 8611FF11 0000FFFF
	s_cmp_lt_u32 s54, 1                                        // 000000004594: BF0A8136
	s_cbranch_scc0 label_0788                                  // 000000004598: BF8400A1
	v_lshrrev_b32_e32 v4, 4, v0                                // 00000000459C: 20080084
	v_mul_u32_u24_e32 v22, 0x44, v4                            // 0000000045A0: 102C08FF 00000044
	v_and_b32_e32 v4, 15, v0                                   // 0000000045A8: 2608008F
	v_mul_lo_u32 v5, 4, v4                                     // 0000000045AC: D2850005 00020884
	v_add_u32_e32 v22, v5, v22                                 // 0000000045B4: 682C2D05
	s_mul_i32 s31, s24, 0x110                                  // 0000000045B8: 921FFF18 00000110
	v_add_u32_e32 v22, s31, v22                                // 0000000045C0: 682C2C1F
	v_lshlrev_b32_e32 v22, 2, v22                              // 0000000045C4: 242C2C82
	v_lshrrev_b32_e32 v4, 2, v0                                // 0000000045C8: 20080082
	v_mul_u32_u24_e32 v25, 0x44, v4                            // 0000000045CC: 103208FF 00000044
	v_and_b32_e32 v4, 3, v0                                    // 0000000045D4: 26080083
	v_add_u32_e32 v25, v4, v25                                 // 0000000045D8: 68323304
	s_mul_i32 s31, s24, 4                                      // 0000000045DC: 921F8418
	v_add_u32_e32 v25, s31, v25                                // 0000000045E0: 6832321F
	v_lshlrev_b32_e32 v25, 2, v25                              // 0000000045E4: 24323282
	s_lshr_b32 s31, s55, 2                                     // 0000000045E8: 8F1F8237
	s_and_b32 s32, s55, 3                                      // 0000000045EC: 86208337
	s_cmp_lt_u32 s24, s32                                      // 0000000045F0: BF0A2018
	s_cselect_b32 s32, 1, 0                                    // 0000000045F4: 85208081
	s_add_u32 s55, s31, s32                                    // 0000000045F8: 8037201F
	s_mov_b32 s33, 0                                           // 0000000045FC: BEA10080
	s_waitcnt vmcnt(0) expcnt(0) lgkmcnt(0)                    // 000000004600: BF8C0000
	s_barrier                                                  // 000000004604: BF8A0000
	ds_write_b128 v22, v[28:31]                                // 000000004608: D9BE0000 00001C16
	ds_write_b128 v22, v[32:35] offset:4352                    // 000000004610: D9BE1100 00002016
	ds_write_b128 v22, v[36:39] offset:8704                    // 000000004618: D9BE2200 00002416
	s_waitcnt lgkmcnt(0)                                       // 000000004620: BF8CC07F
	s_barrier                                                  // 000000004624: BF8A0000
	ds_read_b32 v28, v25                                       // 000000004628: D86C0000 1C000019
	ds_read_b32 v29, v25 offset:64                             // 000000004630: D86C0040 1D000019
	ds_read_b32 v30, v25 offset:128                            // 000000004638: D86C0080 1E000019
	ds_read_b32 v31, v25 offset:192                            // 000000004640: D86C00C0 1F000019
	ds_read_b32 v32, v25 offset:4352                           // 000000004648: D86C1100 20000019
	ds_read_b32 v33, v25 offset:4416                           // 000000004650: D86C1140 21000019
	ds_read_b32 v34, v25 offset:4480                           // 000000004658: D86C1180 22000019
	ds_read_b32 v35, v25 offset:4544                           // 000000004660: D86C11C0 23000019
	ds_read_b32 v36, v25 offset:8704                           // 000000004668: D86C2200 24000019
	ds_read_b32 v37, v25 offset:8768                           // 000000004670: D86C2240 25000019
	ds_read_b32 v38, v25 offset:8832                           // 000000004678: D86C2280 26000019
	ds_read_b32 v39, v25 offset:8896                           // 000000004680: D86C22C0 27000019
	s_waitcnt lgkmcnt(0)                                       // 000000004688: BF8CC07F
	s_cmp_eq_u32 s24, 0                                        // 00000000468C: BF068018
	s_cbranch_scc0 label_072B                                  // 000000004690: BF840006
	s_mov_b32 s31, 0                                           // 000000004694: BE9F0080

0000000000004698 <label_0726>:
	s_load_dword s32, s[40:41], s62 glc                        // 000000004698: C0010814 0000003E
	s_waitcnt lgkmcnt(0)                                       // 0000000046A0: BF8CC07F
	s_cmp_gt_u32 s32, s31                                      // 0000000046A4: BF081F20
	s_cbranch_scc0 label_0726                                  // 0000000046A8: BF84FFFB

00000000000046ac <label_072B>:
	s_barrier                                                  // 0000000046AC: BF8A0000
	s_mul_i32 s31, s30, 4                                      // 0000000046B0: 921F841E
	v_mov_b32_e32 v4, v15                                      // 0000000046B4: 7E08030F
	s_cmp_lt_i32 s33, s55                                      // 0000000046B8: BF043721
	s_cbranch_scc0 label_0782                                  // 0000000046BC: BF840052
	global_atomic_add_f32 v4, v28, s[16:17]                    // 0000000046C0: DD348000 00101C04
	v_add_u32_e64 v4, v4, s31                                  // 0000000046C8: D1340004 00003F04
	s_addk_i32 s33, 0x1                                        // 0000000046D0: B7210001
	s_cmp_lt_i32 s33, s55                                      // 0000000046D4: BF043721
	s_cbranch_scc0 label_0782                                  // 0000000046D8: BF84004B
	global_atomic_add_f32 v4, v29, s[16:17]                    // 0000000046DC: DD348000 00101D04
	v_add_u32_e64 v4, v4, s31                                  // 0000000046E4: D1340004 00003F04
	s_addk_i32 s33, 0x1                                        // 0000000046EC: B7210001
	s_cmp_lt_i32 s33, s55                                      // 0000000046F0: BF043721
	s_cbranch_scc0 label_0782                                  // 0000000046F4: BF840044
	global_atomic_add_f32 v4, v30, s[16:17]                    // 0000000046F8: DD348000 00101E04
	v_add_u32_e64 v4, v4, s31                                  // 000000004700: D1340004 00003F04
	s_addk_i32 s33, 0x1                                        // 000000004708: B7210001
	s_cmp_lt_i32 s33, s55                                      // 00000000470C: BF043721
	s_cbranch_scc0 label_0782                                  // 000000004710: BF84003D
	global_atomic_add_f32 v4, v31, s[16:17]                    // 000000004714: DD348000 00101F04
	v_add_u32_e64 v4, v4, s31                                  // 00000000471C: D1340004 00003F04
	s_addk_i32 s33, 0x1                                        // 000000004724: B7210001
	s_cmp_lt_i32 s33, s55                                      // 000000004728: BF043721
	s_cbranch_scc0 label_0782                                  // 00000000472C: BF840036
	global_atomic_add_f32 v4, v32, s[16:17]                    // 000000004730: DD348000 00102004
	v_add_u32_e64 v4, v4, s31                                  // 000000004738: D1340004 00003F04
	s_addk_i32 s33, 0x1                                        // 000000004740: B7210001
	s_cmp_lt_i32 s33, s55                                      // 000000004744: BF043721
	s_cbranch_scc0 label_0782                                  // 000000004748: BF84002F
	global_atomic_add_f32 v4, v33, s[16:17]                    // 00000000474C: DD348000 00102104
	v_add_u32_e64 v4, v4, s31                                  // 000000004754: D1340004 00003F04
	s_addk_i32 s33, 0x1                                        // 00000000475C: B7210001
	s_cmp_lt_i32 s33, s55                                      // 000000004760: BF043721
	s_cbranch_scc0 label_0782                                  // 000000004764: BF840028
	global_atomic_add_f32 v4, v34, s[16:17]                    // 000000004768: DD348000 00102204
	v_add_u32_e64 v4, v4, s31                                  // 000000004770: D1340004 00003F04
	s_addk_i32 s33, 0x1                                        // 000000004778: B7210001
	s_cmp_lt_i32 s33, s55                                      // 00000000477C: BF043721
	s_cbranch_scc0 label_0782                                  // 000000004780: BF840021
	global_atomic_add_f32 v4, v35, s[16:17]                    // 000000004784: DD348000 00102304
	v_add_u32_e64 v4, v4, s31                                  // 00000000478C: D1340004 00003F04
	s_addk_i32 s33, 0x1                                        // 000000004794: B7210001
	s_cmp_lt_i32 s33, s55                                      // 000000004798: BF043721
	s_cbranch_scc0 label_0782                                  // 00000000479C: BF84001A
	global_atomic_add_f32 v4, v36, s[16:17]                    // 0000000047A0: DD348000 00102404
	v_add_u32_e64 v4, v4, s31                                  // 0000000047A8: D1340004 00003F04
	s_addk_i32 s33, 0x1                                        // 0000000047B0: B7210001
	s_cmp_lt_i32 s33, s55                                      // 0000000047B4: BF043721
	s_cbranch_scc0 label_0782                                  // 0000000047B8: BF840013
	global_atomic_add_f32 v4, v37, s[16:17]                    // 0000000047BC: DD348000 00102504
	v_add_u32_e64 v4, v4, s31                                  // 0000000047C4: D1340004 00003F04
	s_addk_i32 s33, 0x1                                        // 0000000047CC: B7210001
	s_cmp_lt_i32 s33, s55                                      // 0000000047D0: BF043721
	s_cbranch_scc0 label_0782                                  // 0000000047D4: BF84000C
	global_atomic_add_f32 v4, v38, s[16:17]                    // 0000000047D8: DD348000 00102604
	v_add_u32_e64 v4, v4, s31                                  // 0000000047E0: D1340004 00003F04
	s_addk_i32 s33, 0x1                                        // 0000000047E8: B7210001
	s_cmp_lt_i32 s33, s55                                      // 0000000047EC: BF043721
	s_cbranch_scc0 label_0782                                  // 0000000047F0: BF840005
	global_atomic_add_f32 v4, v39, s[16:17]                    // 0000000047F4: DD348000 00102704
	v_add_u32_e64 v4, v4, s31                                  // 0000000047FC: D1340004 00003F04
	s_addk_i32 s33, 0x1                                        // 000000004804: B7210001

0000000000004808 <label_0782>:
	s_barrier                                                  // 000000004808: BF8A0000
	s_cmp_eq_u32 s24, 0                                        // 00000000480C: BF068018
	s_cbranch_scc0 label_0900                                  // 000000004810: BF84017B
	s_atomic_dec s52, s[40:41], s62                            // 000000004814: C2300D14 0000003E
	s_branch label_0900                                        // 00000000481C: BF820178

0000000000004820 <label_0788>:
	v_lshrrev_b32_e32 v4, 4, v0                                // 000000004820: 20080084
	v_mul_u32_u24_e32 v22, 34, v4                              // 000000004824: 102C08A2
	v_and_b32_e32 v4, 15, v0                                   // 000000004828: 2608008F
	v_mul_lo_u32 v5, 2, v4                                     // 00000000482C: D2850005 00020882
	v_add_u32_e32 v22, v5, v22                                 // 000000004834: 682C2D05
	s_mul_i32 s31, s24, 0x88                                   // 000000004838: 921FFF18 00000088
	v_add_u32_e32 v22, s31, v22                                // 000000004840: 682C2C1F
	v_lshlrev_b32_e32 v22, 2, v22                              // 000000004844: 242C2C82
	v_and_b32_e32 v4, 31, v0                                   // 000000004848: 2608009F
	v_lshrrev_b32_e32 v5, 1, v4                                // 00000000484C: 200A0881
	v_mul_u32_u24_e32 v25, 34, v5                              // 000000004850: 10320AA2
	v_and_b32_e32 v5, 1, v4                                    // 000000004854: 260A0881
	v_add_u32_e32 v25, v5, v25                                 // 000000004858: 68323305
	v_lshrrev_b32_e32 v4, 5, v0                                // 00000000485C: 20080085
	v_mul_u32_u24_e32 v4, 8, v4                                // 000000004860: 10080888
	v_add_u32_e32 v25, v4, v25                                 // 000000004864: 68323304
	s_mul_i32 s31, s24, 2                                      // 000000004868: 921F8218
	v_add_u32_e32 v25, s31, v25                                // 00000000486C: 6832321F
	v_lshlrev_b32_e32 v25, 2, v25                              // 000000004870: 24323282
	s_lshr_b32 s31, s55, 2                                     // 000000004874: 8F1F8237
	s_and_b32 s32, s55, 3                                      // 000000004878: 86208337
	s_cmp_lt_u32 s24, s32                                      // 00000000487C: BF0A2018
	s_cselect_b32 s32, 1, 0                                    // 000000004880: 85208081
	s_add_u32 s55, s31, s32                                    // 000000004884: 8037201F
	s_mov_b32 s33, 0                                           // 000000004888: BEA10080
	s_waitcnt vmcnt(0) expcnt(0) lgkmcnt(0)                    // 00000000488C: BF8C0000
	s_barrier                                                  // 000000004890: BF8A0000
	v_cmp_u_f32_e64 s[60:61], v28, v28                         // 000000004894: D048003C 0002391C
	v_add3_u32 v8, v28, v11, 1                                 // 00000000489C: D1FF0008 0206171C
	v_cndmask_b32_e64 v4, v8, v10, s[60:61]                    // 0000000048A4: D1000004 00F21508
	v_cmp_u_f32_e64 s[60:61], v29, v29                         // 0000000048AC: D048003C 00023B1D
	v_add3_u32 v8, v29, v11, 1                                 // 0000000048B4: D1FF0008 0206171D
	v_cndmask_b32_e64 v5, v8, v10, s[60:61]                    // 0000000048BC: D1000005 00F21508
	v_perm_b32 v40, v5, v4, s35                                // 0000000048C4: D1ED0028 008E0905
	v_cmp_u_f32_e64 s[60:61], v30, v30                         // 0000000048CC: D048003C 00023D1E
	v_add3_u32 v8, v30, v11, 1                                 // 0000000048D4: D1FF0008 0206171E
	v_cndmask_b32_e64 v4, v8, v10, s[60:61]                    // 0000000048DC: D1000004 00F21508
	v_cmp_u_f32_e64 s[60:61], v31, v31                         // 0000000048E4: D048003C 00023F1F
	v_add3_u32 v8, v31, v11, 1                                 // 0000000048EC: D1FF0008 0206171F
	v_cndmask_b32_e64 v5, v8, v10, s[60:61]                    // 0000000048F4: D1000005 00F21508
	v_perm_b32 v41, v5, v4, s35                                // 0000000048FC: D1ED0029 008E0905
	v_cmp_u_f32_e64 s[60:61], v32, v32                         // 000000004904: D048003C 00024120
	v_add3_u32 v8, v32, v11, 1                                 // 00000000490C: D1FF0008 02061720
	v_cndmask_b32_e64 v4, v8, v10, s[60:61]                    // 000000004914: D1000004 00F21508
	v_cmp_u_f32_e64 s[60:61], v33, v33                         // 00000000491C: D048003C 00024321
	v_add3_u32 v8, v33, v11, 1                                 // 000000004924: D1FF0008 02061721
	v_cndmask_b32_e64 v5, v8, v10, s[60:61]                    // 00000000492C: D1000005 00F21508
	v_perm_b32 v42, v5, v4, s35                                // 000000004934: D1ED002A 008E0905
	v_cmp_u_f32_e64 s[60:61], v34, v34                         // 00000000493C: D048003C 00024522
	v_add3_u32 v8, v34, v11, 1                                 // 000000004944: D1FF0008 02061722
	v_cndmask_b32_e64 v4, v8, v10, s[60:61]                    // 00000000494C: D1000004 00F21508
	v_cmp_u_f32_e64 s[60:61], v35, v35                         // 000000004954: D048003C 00024723
	v_add3_u32 v8, v35, v11, 1                                 // 00000000495C: D1FF0008 02061723
	v_cndmask_b32_e64 v5, v8, v10, s[60:61]                    // 000000004964: D1000005 00F21508
	v_perm_b32 v43, v5, v4, s35                                // 00000000496C: D1ED002B 008E0905
	v_cmp_u_f32_e64 s[60:61], v36, v36                         // 000000004974: D048003C 00024924
	v_add3_u32 v8, v36, v11, 1                                 // 00000000497C: D1FF0008 02061724
	v_cndmask_b32_e64 v4, v8, v10, s[60:61]                    // 000000004984: D1000004 00F21508
	v_cmp_u_f32_e64 s[60:61], v37, v37                         // 00000000498C: D048003C 00024B25
	v_add3_u32 v8, v37, v11, 1                                 // 000000004994: D1FF0008 02061725
	v_cndmask_b32_e64 v5, v8, v10, s[60:61]                    // 00000000499C: D1000005 00F21508
	v_perm_b32 v44, v5, v4, s35                                // 0000000049A4: D1ED002C 008E0905
	v_cmp_u_f32_e64 s[60:61], v38, v38                         // 0000000049AC: D048003C 00024D26
	v_add3_u32 v8, v38, v11, 1                                 // 0000000049B4: D1FF0008 02061726
	v_cndmask_b32_e64 v4, v8, v10, s[60:61]                    // 0000000049BC: D1000004 00F21508
	v_cmp_u_f32_e64 s[60:61], v39, v39                         // 0000000049C4: D048003C 00024F27
	v_add3_u32 v8, v39, v11, 1                                 // 0000000049CC: D1FF0008 02061727
	v_cndmask_b32_e64 v5, v8, v10, s[60:61]                    // 0000000049D4: D1000005 00F21508
	v_perm_b32 v45, v5, v4, s35                                // 0000000049DC: D1ED002D 008E0905
	ds_write_b64 v22, v[40:41]                                 // 0000000049E4: D89A0000 00002816
	ds_write_b64 v22, v[42:43] offset:2176                     // 0000000049EC: D89A0880 00002A16
	ds_write_b64 v22, v[44:45] offset:4352                     // 0000000049F4: D89A1100 00002C16
	s_waitcnt lgkmcnt(0)                                       // 0000000049FC: BF8CC07F
	s_barrier                                                  // 000000004A00: BF8A0000
	ds_read_b32 v40, v25                                       // 000000004A04: D86C0000 28000019
	ds_read_b32 v41, v25 offset:64                             // 000000004A0C: D86C0040 29000019
	ds_read_b32 v42, v25 offset:2176                           // 000000004A14: D86C0880 2A000019
	ds_read_b32 v43, v25 offset:2240                           // 000000004A1C: D86C08C0 2B000019
	ds_read_b32 v44, v25 offset:4352                           // 000000004A24: D86C1100 2C000019
	ds_read_b32 v45, v25 offset:4416                           // 000000004A2C: D86C1140 2D000019
	s_waitcnt lgkmcnt(0)                                       // 000000004A34: BF8CC07F
	s_cmp_eq_u32 s24, 0                                        // 000000004A38: BF068018
	s_cbranch_scc0 label_0816                                  // 000000004A3C: BF840006
	s_mov_b32 s31, 0                                           // 000000004A40: BE9F0080

0000000000004a44 <label_0811>:
	s_load_dword s32, s[40:41], s62 glc                        // 000000004A44: C0010814 0000003E
	s_waitcnt lgkmcnt(0)                                       // 000000004A4C: BF8CC07F
	s_cmp_gt_u32 s32, s31                                      // 000000004A50: BF081F20
	s_cbranch_scc0 label_0811                                  // 000000004A54: BF84FFFB

0000000000004a58 <label_0816>:
	s_barrier                                                  // 000000004A58: BF8A0000
	s_mul_i32 s31, s30, 8                                      // 000000004A5C: 921F881E
	v_mov_b32_e32 v4, v15                                      // 000000004A60: 7E08030F
	s_cmp_lt_i32 s33, s55                                      // 000000004A64: BF043721
	s_cbranch_scc0 label_0897                                  // 000000004A68: BF84007C
	s_mov_b32 s58, -1                                          // 000000004A6C: BEBA00C1
	s_mov_b32 s59, 0                                           // 000000004A70: BEBB0080
	s_mov_b64 exec, s[58:59]                                   // 000000004A74: BEFE013A
	global_atomic_pk_add_bf16 v4, v40, s[16:17]                // 000000004A78: DD488000 00102804
	s_addk_i32 s33, 0x1                                        // 000000004A80: B7210001
	s_cmp_lt_i32 s33, s55                                      // 000000004A84: BF043721
	s_cbranch_scc0 label_0897                                  // 000000004A88: BF840074
	s_mov_b32 s58, 0                                           // 000000004A8C: BEBA0080
	s_mov_b32 s59, -1                                          // 000000004A90: BEBB00C1
	s_mov_b64 exec, s[58:59]                                   // 000000004A94: BEFE013A
	global_atomic_pk_add_bf16 v4, v40, s[16:17]                // 000000004A98: DD488000 00102804
	s_addk_i32 s33, 0x1                                        // 000000004AA0: B7210001
	s_mov_b32 s58, -1                                          // 000000004AA4: BEBA00C1
	s_mov_b32 s59, -1                                          // 000000004AA8: BEBB00C1
	s_mov_b64 exec, s[58:59]                                   // 000000004AAC: BEFE013A
	v_add_u32_e64 v4, v4, s31                                  // 000000004AB0: D1340004 00003F04
	s_cmp_lt_i32 s33, s55                                      // 000000004AB8: BF043721
	s_cbranch_scc0 label_0897                                  // 000000004ABC: BF840067
	s_mov_b32 s58, -1                                          // 000000004AC0: BEBA00C1
	s_mov_b32 s59, 0                                           // 000000004AC4: BEBB0080
	s_mov_b64 exec, s[58:59]                                   // 000000004AC8: BEFE013A
	global_atomic_pk_add_bf16 v4, v41, s[16:17]                // 000000004ACC: DD488000 00102904
	s_addk_i32 s33, 0x1                                        // 000000004AD4: B7210001
	s_cmp_lt_i32 s33, s55                                      // 000000004AD8: BF043721
	s_cbranch_scc0 label_0897                                  // 000000004ADC: BF84005F
	s_mov_b32 s58, 0                                           // 000000004AE0: BEBA0080
	s_mov_b32 s59, -1                                          // 000000004AE4: BEBB00C1
	s_mov_b64 exec, s[58:59]                                   // 000000004AE8: BEFE013A
	global_atomic_pk_add_bf16 v4, v41, s[16:17]                // 000000004AEC: DD488000 00102904
	s_addk_i32 s33, 0x1                                        // 000000004AF4: B7210001
	s_mov_b32 s58, -1                                          // 000000004AF8: BEBA00C1
	s_mov_b32 s59, -1                                          // 000000004AFC: BEBB00C1
	s_mov_b64 exec, s[58:59]                                   // 000000004B00: BEFE013A
	v_add_u32_e64 v4, v4, s31                                  // 000000004B04: D1340004 00003F04
	s_cmp_lt_i32 s33, s55                                      // 000000004B0C: BF043721
	s_cbranch_scc0 label_0897                                  // 000000004B10: BF840052
	s_mov_b32 s58, -1                                          // 000000004B14: BEBA00C1
	s_mov_b32 s59, 0                                           // 000000004B18: BEBB0080
	s_mov_b64 exec, s[58:59]                                   // 000000004B1C: BEFE013A
	global_atomic_pk_add_bf16 v4, v42, s[16:17]                // 000000004B20: DD488000 00102A04
	s_addk_i32 s33, 0x1                                        // 000000004B28: B7210001
	s_cmp_lt_i32 s33, s55                                      // 000000004B2C: BF043721
	s_cbranch_scc0 label_0897                                  // 000000004B30: BF84004A
	s_mov_b32 s58, 0                                           // 000000004B34: BEBA0080
	s_mov_b32 s59, -1                                          // 000000004B38: BEBB00C1
	s_mov_b64 exec, s[58:59]                                   // 000000004B3C: BEFE013A
	global_atomic_pk_add_bf16 v4, v42, s[16:17]                // 000000004B40: DD488000 00102A04
	s_addk_i32 s33, 0x1                                        // 000000004B48: B7210001
	s_mov_b32 s58, -1                                          // 000000004B4C: BEBA00C1
	s_mov_b32 s59, -1                                          // 000000004B50: BEBB00C1
	s_mov_b64 exec, s[58:59]                                   // 000000004B54: BEFE013A
	v_add_u32_e64 v4, v4, s31                                  // 000000004B58: D1340004 00003F04
	s_cmp_lt_i32 s33, s55                                      // 000000004B60: BF043721
	s_cbranch_scc0 label_0897                                  // 000000004B64: BF84003D
	s_mov_b32 s58, -1                                          // 000000004B68: BEBA00C1
	s_mov_b32 s59, 0                                           // 000000004B6C: BEBB0080
	s_mov_b64 exec, s[58:59]                                   // 000000004B70: BEFE013A
	global_atomic_pk_add_bf16 v4, v43, s[16:17]                // 000000004B74: DD488000 00102B04
	s_addk_i32 s33, 0x1                                        // 000000004B7C: B7210001
	s_cmp_lt_i32 s33, s55                                      // 000000004B80: BF043721
	s_cbranch_scc0 label_0897                                  // 000000004B84: BF840035
	s_mov_b32 s58, 0                                           // 000000004B88: BEBA0080
	s_mov_b32 s59, -1                                          // 000000004B8C: BEBB00C1
	s_mov_b64 exec, s[58:59]                                   // 000000004B90: BEFE013A
	global_atomic_pk_add_bf16 v4, v43, s[16:17]                // 000000004B94: DD488000 00102B04
	s_addk_i32 s33, 0x1                                        // 000000004B9C: B7210001
	s_mov_b32 s58, -1                                          // 000000004BA0: BEBA00C1
	s_mov_b32 s59, -1                                          // 000000004BA4: BEBB00C1
	s_mov_b64 exec, s[58:59]                                   // 000000004BA8: BEFE013A
	v_add_u32_e64 v4, v4, s31                                  // 000000004BAC: D1340004 00003F04
	s_cmp_lt_i32 s33, s55                                      // 000000004BB4: BF043721
	s_cbranch_scc0 label_0897                                  // 000000004BB8: BF840028
	s_mov_b32 s58, -1                                          // 000000004BBC: BEBA00C1
	s_mov_b32 s59, 0                                           // 000000004BC0: BEBB0080
	s_mov_b64 exec, s[58:59]                                   // 000000004BC4: BEFE013A
	global_atomic_pk_add_bf16 v4, v44, s[16:17]                // 000000004BC8: DD488000 00102C04
	s_addk_i32 s33, 0x1                                        // 000000004BD0: B7210001
	s_cmp_lt_i32 s33, s55                                      // 000000004BD4: BF043721
	s_cbranch_scc0 label_0897                                  // 000000004BD8: BF840020
	s_mov_b32 s58, 0                                           // 000000004BDC: BEBA0080
	s_mov_b32 s59, -1                                          // 000000004BE0: BEBB00C1
	s_mov_b64 exec, s[58:59]                                   // 000000004BE4: BEFE013A
	global_atomic_pk_add_bf16 v4, v44, s[16:17]                // 000000004BE8: DD488000 00102C04
	s_addk_i32 s33, 0x1                                        // 000000004BF0: B7210001
	s_mov_b32 s58, -1                                          // 000000004BF4: BEBA00C1
	s_mov_b32 s59, -1                                          // 000000004BF8: BEBB00C1
	s_mov_b64 exec, s[58:59]                                   // 000000004BFC: BEFE013A
	v_add_u32_e64 v4, v4, s31                                  // 000000004C00: D1340004 00003F04
	s_cmp_lt_i32 s33, s55                                      // 000000004C08: BF043721
	s_cbranch_scc0 label_0897                                  // 000000004C0C: BF840013
	s_mov_b32 s58, -1                                          // 000000004C10: BEBA00C1
	s_mov_b32 s59, 0                                           // 000000004C14: BEBB0080
	s_mov_b64 exec, s[58:59]                                   // 000000004C18: BEFE013A
	global_atomic_pk_add_bf16 v4, v45, s[16:17]                // 000000004C1C: DD488000 00102D04
	s_addk_i32 s33, 0x1                                        // 000000004C24: B7210001
	s_cmp_lt_i32 s33, s55                                      // 000000004C28: BF043721
	s_cbranch_scc0 label_0897                                  // 000000004C2C: BF84000B
	s_mov_b32 s58, 0                                           // 000000004C30: BEBA0080
	s_mov_b32 s59, -1                                          // 000000004C34: BEBB00C1
	s_mov_b64 exec, s[58:59]                                   // 000000004C38: BEFE013A
	global_atomic_pk_add_bf16 v4, v45, s[16:17]                // 000000004C3C: DD488000 00102D04
	s_addk_i32 s33, 0x1                                        // 000000004C44: B7210001
	s_mov_b32 s58, -1                                          // 000000004C48: BEBA00C1
	s_mov_b32 s59, -1                                          // 000000004C4C: BEBB00C1
	s_mov_b64 exec, s[58:59]                                   // 000000004C50: BEFE013A
	v_add_u32_e64 v4, v4, s31                                  // 000000004C54: D1340004 00003F04

0000000000004c5c <label_0897>:
	s_barrier                                                  // 000000004C5C: BF8A0000
	s_cmp_eq_u32 s24, 0                                        // 000000004C60: BF068018
	s_cbranch_scc0 label_0900                                  // 000000004C64: BF840066
	s_atomic_dec s52, s[40:41], s62                            // 000000004C68: C2300D14 0000003E
	s_branch label_0900                                        // 000000004C70: BF820063

0000000000004c74 <label_089D>:
	s_cmp_lt_u32 s54, 1                                        // 000000004C74: BF0A8136
	s_cbranch_scc0 label_08A6                                  // 000000004C78: BF840007
	buffer_store_dwordx4 v[28:31], v12, s[16:19], 0 offen      // 000000004C7C: E07C1000 80041C0C
	buffer_store_dwordx4 v[32:35], v13, s[16:19], 0 offen      // 000000004C84: E07C1000 8004200D
	buffer_store_dwordx4 v[36:39], v14, s[16:19], 0 offen      // 000000004C8C: E07C1000 8004240E
	s_branch label_0900                                        // 000000004C94: BF82005A

0000000000004c98 <label_08A6>:
	v_cmp_u_f32_e64 s[60:61], v28, v28                         // 000000004C98: D048003C 0002391C
	v_add3_u32 v8, v28, v11, 1                                 // 000000004CA0: D1FF0008 0206171C
	v_cndmask_b32_e64 v4, v8, v10, s[60:61]                    // 000000004CA8: D1000004 00F21508
	v_cmp_u_f32_e64 s[60:61], v29, v29                         // 000000004CB0: D048003C 00023B1D
	v_add3_u32 v8, v29, v11, 1                                 // 000000004CB8: D1FF0008 0206171D
	v_cndmask_b32_e64 v5, v8, v10, s[60:61]                    // 000000004CC0: D1000005 00F21508
	v_perm_b32 v40, v5, v4, s35                                // 000000004CC8: D1ED0028 008E0905
	v_cmp_u_f32_e64 s[60:61], v30, v30                         // 000000004CD0: D048003C 00023D1E
	v_add3_u32 v8, v30, v11, 1                                 // 000000004CD8: D1FF0008 0206171E
	v_cndmask_b32_e64 v4, v8, v10, s[60:61]                    // 000000004CE0: D1000004 00F21508
	v_cmp_u_f32_e64 s[60:61], v31, v31                         // 000000004CE8: D048003C 00023F1F
	v_add3_u32 v8, v31, v11, 1                                 // 000000004CF0: D1FF0008 0206171F
	v_cndmask_b32_e64 v5, v8, v10, s[60:61]                    // 000000004CF8: D1000005 00F21508
	v_perm_b32 v41, v5, v4, s35                                // 000000004D00: D1ED0029 008E0905
	buffer_store_dwordx2 v[40:41], v12, s[16:19], 0 offen      // 000000004D08: E0741000 8004280C
	v_cmp_u_f32_e64 s[60:61], v32, v32                         // 000000004D10: D048003C 00024120
	v_add3_u32 v8, v32, v11, 1                                 // 000000004D18: D1FF0008 02061720
	v_cndmask_b32_e64 v4, v8, v10, s[60:61]                    // 000000004D20: D1000004 00F21508
	v_cmp_u_f32_e64 s[60:61], v33, v33                         // 000000004D28: D048003C 00024321
	v_add3_u32 v8, v33, v11, 1                                 // 000000004D30: D1FF0008 02061721
	v_cndmask_b32_e64 v5, v8, v10, s[60:61]                    // 000000004D38: D1000005 00F21508
	v_perm_b32 v42, v5, v4, s35                                // 000000004D40: D1ED002A 008E0905
	v_cmp_u_f32_e64 s[60:61], v34, v34                         // 000000004D48: D048003C 00024522
	v_add3_u32 v8, v34, v11, 1                                 // 000000004D50: D1FF0008 02061722
	v_cndmask_b32_e64 v4, v8, v10, s[60:61]                    // 000000004D58: D1000004 00F21508
	v_cmp_u_f32_e64 s[60:61], v35, v35                         // 000000004D60: D048003C 00024723
	v_add3_u32 v8, v35, v11, 1                                 // 000000004D68: D1FF0008 02061723
	v_cndmask_b32_e64 v5, v8, v10, s[60:61]                    // 000000004D70: D1000005 00F21508
	v_perm_b32 v43, v5, v4, s35                                // 000000004D78: D1ED002B 008E0905
	buffer_store_dwordx2 v[42:43], v13, s[16:19], 0 offen      // 000000004D80: E0741000 80042A0D
	v_cmp_u_f32_e64 s[60:61], v36, v36                         // 000000004D88: D048003C 00024924
	v_add3_u32 v8, v36, v11, 1                                 // 000000004D90: D1FF0008 02061724
	v_cndmask_b32_e64 v4, v8, v10, s[60:61]                    // 000000004D98: D1000004 00F21508
	v_cmp_u_f32_e64 s[60:61], v37, v37                         // 000000004DA0: D048003C 00024B25
	v_add3_u32 v8, v37, v11, 1                                 // 000000004DA8: D1FF0008 02061725
	v_cndmask_b32_e64 v5, v8, v10, s[60:61]                    // 000000004DB0: D1000005 00F21508
	v_perm_b32 v44, v5, v4, s35                                // 000000004DB8: D1ED002C 008E0905
	v_cmp_u_f32_e64 s[60:61], v38, v38                         // 000000004DC0: D048003C 00024D26
	v_add3_u32 v8, v38, v11, 1                                 // 000000004DC8: D1FF0008 02061726
	v_cndmask_b32_e64 v4, v8, v10, s[60:61]                    // 000000004DD0: D1000004 00F21508
	v_cmp_u_f32_e64 s[60:61], v39, v39                         // 000000004DD8: D048003C 00024F27
	v_add3_u32 v8, v39, v11, 1                                 // 000000004DE0: D1FF0008 02061727
	v_cndmask_b32_e64 v5, v8, v10, s[60:61]                    // 000000004DE8: D1000005 00F21508
	v_perm_b32 v45, v5, v4, s35                                // 000000004DF0: D1ED002D 008E0905
	buffer_store_dwordx2 v[44:45], v14, s[16:19], 0 offen      // 000000004DF8: E0741000 80042C0E

0000000000004e00 <label_0900>:
	s_waitcnt vmcnt(0) expcnt(0) lgkmcnt(0)                    // 000000004E00: BF8C0000
	s_endpgm                                                   // 000000004E04: BF810000
